;; amdgpu-corpus repo=ROCm/rocFFT kind=compiled arch=gfx1100 opt=O3
	.text
	.amdgcn_target "amdgcn-amd-amdhsa--gfx1100"
	.amdhsa_code_object_version 6
	.protected	bluestein_single_back_len4000_dim1_dp_op_CI_CI ; -- Begin function bluestein_single_back_len4000_dim1_dp_op_CI_CI
	.globl	bluestein_single_back_len4000_dim1_dp_op_CI_CI
	.p2align	8
	.type	bluestein_single_back_len4000_dim1_dp_op_CI_CI,@function
bluestein_single_back_len4000_dim1_dp_op_CI_CI: ; @bluestein_single_back_len4000_dim1_dp_op_CI_CI
; %bb.0:
	s_load_b128 s[16:19], s[0:1], 0x28
	v_mul_u32_u24_e32 v1, 0x148, v0
	s_mov_b32 s2, exec_lo
	v_mov_b32_e32 v3, 0
	s_delay_alu instid0(VALU_DEP_2) | instskip(NEXT) | instid1(VALU_DEP_1)
	v_lshrrev_b32_e32 v1, 16, v1
	v_add_nc_u32_e32 v2, s15, v1
	s_waitcnt lgkmcnt(0)
	s_delay_alu instid0(VALU_DEP_1)
	v_cmpx_gt_u64_e64 s[16:17], v[2:3]
	s_cbranch_execz .LBB0_2
; %bb.1:
	s_clause 0x1
	s_load_b128 s[4:7], s[0:1], 0x18
	s_load_b128 s[8:11], s[0:1], 0x0
	v_mul_lo_u16 v1, 0xc8, v1
	v_mov_b32_e32 v6, v2
	s_mov_b32 s17, 0xbfee6f0e
	s_mov_b32 s22, 0x9b97f4a8
	;; [unrolled: 1-line block ×3, first 2 shown]
	v_sub_nc_u16 v0, v0, v1
	scratch_store_b64 off, v[6:7], off      ; 8-byte Folded Spill
	s_mov_b32 s21, 0xbfe9e377
	s_mov_b32 s20, s22
	s_load_b64 s[0:1], s[0:1], 0x38
	v_and_b32_e32 v142, 0xffff, v0
	v_mov_b32_e32 v176, v0
	s_waitcnt lgkmcnt(0)
	s_load_b128 s[12:15], s[4:5], 0x0
	s_waitcnt lgkmcnt(0)
	v_mad_u64_u32 v[0:1], null, s14, v2, 0
	v_mad_u64_u32 v[2:3], null, s12, v142, 0
	s_mul_i32 s3, s13, 0x1900
	s_mul_hi_u32 s4, s12, 0x1900
	s_delay_alu instid0(SALU_CYCLE_1) | instskip(SKIP_1) | instid1(VALU_DEP_1)
	s_add_i32 s3, s4, s3
	s_mul_i32 s4, s13, 0xffff2b80
	v_mad_u64_u32 v[4:5], null, s15, v6, v[1:2]
	s_sub_i32 s4, s4, s12
	s_mov_b32 s14, 0x134454ff
	s_mov_b32 s15, 0x3fee6f0e
	;; [unrolled: 1-line block ×3, first 2 shown]
	s_delay_alu instid0(VALU_DEP_1) | instskip(SKIP_2) | instid1(VALU_DEP_3)
	v_mov_b32_e32 v1, v4
	v_lshlrev_b32_e32 v143, 4, v142
	v_mad_u64_u32 v[5:6], null, s13, v142, v[3:4]
	v_lshlrev_b64 v[0:1], 4, v[0:1]
	s_delay_alu instid0(VALU_DEP_3) | instskip(NEXT) | instid1(VALU_DEP_1)
	v_add_co_u32 v132, s2, s8, v143
	v_add_co_ci_u32_e64 v133, null, s9, 0, s2
	s_delay_alu instid0(VALU_DEP_4) | instskip(NEXT) | instid1(VALU_DEP_3)
	v_mov_b32_e32 v3, v5
	v_add_co_u32 v8, vcc_lo, 0x1000, v132
	s_delay_alu instid0(VALU_DEP_3) | instskip(NEXT) | instid1(VALU_DEP_3)
	v_add_co_ci_u32_e32 v9, vcc_lo, 0, v133, vcc_lo
	v_lshlrev_b64 v[2:3], 4, v[2:3]
	v_add_co_u32 v0, vcc_lo, s18, v0
	v_add_co_ci_u32_e32 v1, vcc_lo, s19, v1, vcc_lo
	s_mul_i32 s2, s12, 0x1900
	s_delay_alu instid0(VALU_DEP_2) | instskip(NEXT) | instid1(VALU_DEP_2)
	v_add_co_u32 v0, vcc_lo, v0, v2
	v_add_co_ci_u32_e32 v1, vcc_lo, v1, v3, vcc_lo
	s_mov_b32 s19, 0xbfd3c6ef
	s_delay_alu instid0(VALU_DEP_2) | instskip(NEXT) | instid1(VALU_DEP_2)
	v_add_co_u32 v2, vcc_lo, v0, s2
	v_add_co_ci_u32_e32 v3, vcc_lo, s3, v1, vcc_lo
	global_load_b128 v[12:15], v143, s[8:9]
	global_load_b128 v[4:7], v[0:1], off
	global_load_b128 v[18:21], v[8:9], off offset:2304
	global_load_b128 v[8:11], v[2:3], off
	global_load_b128 v[56:59], v143, s[8:9] offset:3200
	s_mov_b32 s9, 0xbfe2cf23
	s_waitcnt vmcnt(4)
	v_mov_b32_e32 v17, v15
	s_waitcnt vmcnt(2)
	v_dual_mov_b32 v29, v21 :: v_dual_mov_b32 v26, v18
	v_mov_b32_e32 v28, v20
	v_dual_mov_b32 v16, v14 :: v_dual_mov_b32 v15, v13
	v_dual_mov_b32 v14, v12 :: v_dual_mov_b32 v27, v19
	s_delay_alu instid0(VALU_DEP_2) | instskip(SKIP_2) | instid1(VALU_DEP_4)
	v_dual_mov_b32 v25, v17 :: v_dual_mov_b32 v24, v16
	v_mul_f64 v[0:1], v[6:7], v[16:17]
	v_mul_f64 v[12:13], v[4:5], v[16:17]
	v_dual_mov_b32 v23, v15 :: v_dual_mov_b32 v22, v14
	s_waitcnt vmcnt(1)
	v_mul_f64 v[14:15], v[10:11], v[20:21]
	v_add_co_u32 v18, vcc_lo, 0x3000, v132
	v_add_co_ci_u32_e32 v19, vcc_lo, 0, v133, vcc_lo
	v_add_co_u32 v2, vcc_lo, v2, s2
	v_add_co_ci_u32_e32 v3, vcc_lo, s3, v3, vcc_lo
	v_mul_f64 v[16:17], v[8:9], v[20:21]
	scratch_store_b128 off, v[22:25], off offset:104 ; 16-byte Folded Spill
	s_waitcnt vmcnt(0)
	scratch_store_b128 off, v[56:59], off offset:168 ; 16-byte Folded Spill
	v_fma_f64 v[4:5], v[4:5], v[22:23], v[0:1]
	v_fma_f64 v[6:7], v[6:7], v[22:23], -v[12:13]
	global_load_b128 v[20:23], v[18:19], off offset:512
	scratch_store_b128 off, v[26:29], off offset:88 ; 16-byte Folded Spill
	v_fma_f64 v[8:9], v[8:9], v[26:27], v[14:15]
	global_load_b128 v[12:15], v[2:3], off
	v_fma_f64 v[10:11], v[10:11], v[26:27], -v[16:17]
	s_waitcnt vmcnt(1)
	scratch_store_b128 off, v[20:23], off offset:56 ; 16-byte Folded Spill
	s_waitcnt vmcnt(0)
	v_mul_f64 v[0:1], v[14:15], v[22:23]
	v_mul_f64 v[16:17], v[12:13], v[22:23]
	s_delay_alu instid0(VALU_DEP_2)
	v_fma_f64 v[12:13], v[12:13], v[20:21], v[0:1]
	v_add_co_u32 v0, vcc_lo, v2, s2
	v_add_co_ci_u32_e32 v1, vcc_lo, s3, v3, vcc_lo
	v_add_co_u32 v2, vcc_lo, 0x4000, v132
	v_add_co_ci_u32_e32 v3, vcc_lo, 0, v133, vcc_lo
	v_fma_f64 v[14:15], v[14:15], v[20:21], -v[16:17]
	global_load_b128 v[20:23], v[0:1], off
	v_add_co_u32 v0, vcc_lo, v0, s2
	global_load_b128 v[24:27], v[2:3], off offset:2816
	v_add_co_ci_u32_e32 v1, vcc_lo, s3, v1, vcc_lo
	s_waitcnt vmcnt(0)
	v_mul_f64 v[2:3], v[22:23], v[26:27]
	v_mul_f64 v[16:17], v[20:21], v[26:27]
	s_delay_alu instid0(VALU_DEP_2) | instskip(SKIP_2) | instid1(VALU_DEP_4)
	v_fma_f64 v[20:21], v[20:21], v[24:25], v[2:3]
	v_add_co_u32 v2, vcc_lo, 0x6000, v132
	v_add_co_ci_u32_e32 v3, vcc_lo, 0, v133, vcc_lo
	v_fma_f64 v[22:23], v[22:23], v[24:25], -v[16:17]
	global_load_b128 v[28:31], v[2:3], off offset:1024
	scratch_store_b128 off, v[24:27], off offset:8 ; 16-byte Folded Spill
	global_load_b128 v[24:27], v[0:1], off
	v_add_co_u32 v0, vcc_lo, v0, s2
	v_add_co_ci_u32_e32 v1, vcc_lo, s3, v1, vcc_lo
	s_waitcnt vmcnt(1)
	scratch_store_b128 off, v[28:31], off offset:24 ; 16-byte Folded Spill
	s_waitcnt vmcnt(0)
	v_mul_f64 v[2:3], v[26:27], v[30:31]
	v_mul_f64 v[16:17], v[24:25], v[30:31]
	s_delay_alu instid0(VALU_DEP_2) | instskip(SKIP_2) | instid1(VALU_DEP_4)
	v_fma_f64 v[24:25], v[24:25], v[28:29], v[2:3]
	v_add_co_u32 v2, vcc_lo, 0x7000, v132
	v_add_co_ci_u32_e32 v3, vcc_lo, 0, v133, vcc_lo
	v_fma_f64 v[26:27], v[26:27], v[28:29], -v[16:17]
	global_load_b128 v[28:31], v[0:1], off
	v_add_co_u32 v0, vcc_lo, v0, s2
	global_load_b128 v[34:37], v[2:3], off offset:3328
	v_add_co_ci_u32_e32 v1, vcc_lo, s3, v1, vcc_lo
	s_waitcnt vmcnt(0)
	v_mul_f64 v[16:17], v[30:31], v[36:37]
	v_mul_f64 v[32:33], v[28:29], v[36:37]
	s_delay_alu instid0(VALU_DEP_2)
	v_fma_f64 v[28:29], v[28:29], v[34:35], v[16:17]
	v_add_co_u32 v16, vcc_lo, 0x9000, v132
	v_add_co_ci_u32_e32 v17, vcc_lo, 0, v133, vcc_lo
	global_load_b128 v[38:41], v[16:17], off offset:1536
	scratch_store_b128 off, v[34:37], off offset:40 ; 16-byte Folded Spill
	v_fma_f64 v[30:31], v[30:31], v[34:35], -v[32:33]
	global_load_b128 v[32:35], v[0:1], off
	v_add_co_u32 v0, vcc_lo, v0, s2
	v_add_co_ci_u32_e32 v1, vcc_lo, s3, v1, vcc_lo
	s_waitcnt vmcnt(1)
	scratch_store_b128 off, v[38:41], off offset:72 ; 16-byte Folded Spill
	s_waitcnt vmcnt(0)
	v_mul_f64 v[16:17], v[34:35], v[40:41]
	v_mul_f64 v[36:37], v[32:33], v[40:41]
	s_delay_alu instid0(VALU_DEP_2) | instskip(SKIP_2) | instid1(VALU_DEP_4)
	v_fma_f64 v[32:33], v[32:33], v[38:39], v[16:17]
	v_add_co_u32 v16, vcc_lo, 0xa000, v132
	v_add_co_ci_u32_e32 v17, vcc_lo, 0, v133, vcc_lo
	v_fma_f64 v[34:35], v[34:35], v[38:39], -v[36:37]
	global_load_b128 v[36:39], v[0:1], off
	v_add_co_u32 v0, vcc_lo, v0, s2
	global_load_b128 v[44:47], v[16:17], off offset:3840
	v_add_co_ci_u32_e32 v1, vcc_lo, s3, v1, vcc_lo
	s_waitcnt vmcnt(0)
	v_mul_f64 v[40:41], v[38:39], v[46:47]
	v_mul_f64 v[42:43], v[36:37], v[46:47]
	s_delay_alu instid0(VALU_DEP_2)
	v_fma_f64 v[36:37], v[36:37], v[44:45], v[40:41]
	v_add_co_u32 v40, vcc_lo, 0xc000, v132
	v_add_co_ci_u32_e32 v41, vcc_lo, 0, v133, vcc_lo
	global_load_b128 v[48:51], v[40:41], off offset:2048
	v_fma_f64 v[38:39], v[38:39], v[44:45], -v[42:43]
	global_load_b128 v[40:43], v[0:1], off
	scratch_store_b128 off, v[44:47], off offset:120 ; 16-byte Folded Spill
	v_add_co_u32 v0, vcc_lo, v0, s2
	v_add_co_ci_u32_e32 v1, vcc_lo, s3, v1, vcc_lo
	v_add_co_u32 v108, vcc_lo, 0xe000, v132
	v_add_co_ci_u32_e32 v109, vcc_lo, 0, v133, vcc_lo
	global_load_b128 v[52:55], v[108:109], off offset:256
	s_waitcnt vmcnt(2)
	scratch_store_b128 off, v[48:51], off offset:136 ; 16-byte Folded Spill
	s_waitcnt vmcnt(1)
	v_mul_f64 v[44:45], v[42:43], v[50:51]
	v_mul_f64 v[46:47], v[40:41], v[50:51]
	s_waitcnt vmcnt(0)
	scratch_store_b128 off, v[52:55], off offset:152 ; 16-byte Folded Spill
	v_fma_f64 v[40:41], v[40:41], v[48:49], v[44:45]
	v_fma_f64 v[42:43], v[42:43], v[48:49], -v[46:47]
	global_load_b128 v[44:47], v[0:1], off
	s_waitcnt vmcnt(0)
	v_mul_f64 v[48:49], v[46:47], v[54:55]
	v_mul_f64 v[50:51], v[44:45], v[54:55]
	s_delay_alu instid0(VALU_DEP_2) | instskip(NEXT) | instid1(VALU_DEP_2)
	v_fma_f64 v[44:45], v[44:45], v[52:53], v[48:49]
	v_fma_f64 v[46:47], v[46:47], v[52:53], -v[50:51]
	v_mad_u64_u32 v[52:53], null, 0xffff2b80, s12, v[0:1]
	s_mov_b32 s12, 0x372fe950
	s_mov_b32 s13, 0x3fd3c6ef
	;; [unrolled: 1-line block ×3, first 2 shown]
	s_delay_alu instid0(VALU_DEP_1) | instskip(SKIP_4) | instid1(VALU_DEP_2)
	v_add_nc_u32_e32 v53, s4, v53
	global_load_b128 v[48:51], v[52:53], off
	s_waitcnt vmcnt(0)
	v_mul_f64 v[0:1], v[50:51], v[58:59]
	v_mul_f64 v[54:55], v[48:49], v[58:59]
	v_fma_f64 v[48:49], v[48:49], v[56:57], v[0:1]
	v_add_co_u32 v0, vcc_lo, v52, s2
	v_add_co_ci_u32_e32 v1, vcc_lo, s3, v53, vcc_lo
	v_add_co_u32 v52, vcc_lo, 0x2000, v132
	v_add_co_ci_u32_e32 v53, vcc_lo, 0, v133, vcc_lo
	v_fma_f64 v[50:51], v[50:51], v[56:57], -v[54:55]
	global_load_b128 v[60:63], v[52:53], off offset:1408
	global_load_b128 v[52:55], v[0:1], off
	v_add_co_u32 v0, vcc_lo, v0, s2
	v_add_co_ci_u32_e32 v1, vcc_lo, s3, v1, vcc_lo
	s_waitcnt vmcnt(1)
	scratch_store_b128 off, v[60:63], off offset:184 ; 16-byte Folded Spill
	s_waitcnt vmcnt(0)
	v_mul_f64 v[56:57], v[54:55], v[62:63]
	v_mul_f64 v[58:59], v[52:53], v[62:63]
	global_load_b128 v[62:65], v[18:19], off offset:3712
	v_fma_f64 v[52:53], v[52:53], v[60:61], v[56:57]
	v_fma_f64 v[54:55], v[54:55], v[60:61], -v[58:59]
	global_load_b128 v[56:59], v[0:1], off
	v_add_co_u32 v0, vcc_lo, v0, s2
	v_add_co_ci_u32_e32 v1, vcc_lo, s3, v1, vcc_lo
	s_waitcnt vmcnt(1)
	scratch_store_b128 off, v[62:65], off offset:200 ; 16-byte Folded Spill
	s_waitcnt vmcnt(0)
	v_mul_f64 v[18:19], v[58:59], v[64:65]
	v_mul_f64 v[60:61], v[56:57], v[64:65]
	s_delay_alu instid0(VALU_DEP_2) | instskip(SKIP_2) | instid1(VALU_DEP_4)
	v_fma_f64 v[80:81], v[56:57], v[62:63], v[18:19]
	v_add_co_u32 v18, vcc_lo, 0x5000, v132
	v_add_co_ci_u32_e32 v19, vcc_lo, 0, v133, vcc_lo
	v_fma_f64 v[82:83], v[58:59], v[62:63], -v[60:61]
	global_load_b128 v[56:59], v[0:1], off
	v_add_co_u32 v0, vcc_lo, v0, s2
	global_load_b128 v[62:65], v[18:19], off offset:1920
	v_add_co_ci_u32_e32 v1, vcc_lo, s3, v1, vcc_lo
	s_waitcnt vmcnt(0)
	v_mul_f64 v[18:19], v[58:59], v[64:65]
	v_mul_f64 v[60:61], v[56:57], v[64:65]
	s_delay_alu instid0(VALU_DEP_2) | instskip(NEXT) | instid1(VALU_DEP_2)
	v_fma_f64 v[84:85], v[56:57], v[62:63], v[18:19]
	v_fma_f64 v[86:87], v[58:59], v[62:63], -v[60:61]
	global_load_b128 v[56:59], v[2:3], off offset:128
	scratch_store_b128 off, v[62:65], off offset:216 ; 16-byte Folded Spill
	global_load_b128 v[60:63], v[0:1], off
	v_add_co_u32 v0, vcc_lo, v0, s2
	v_add_co_ci_u32_e32 v1, vcc_lo, s3, v1, vcc_lo
	global_load_b128 v[64:67], v[0:1], off
	s_waitcnt vmcnt(2)
	scratch_store_b128 off, v[56:59], off offset:232 ; 16-byte Folded Spill
	s_waitcnt vmcnt(1)
	v_mul_f64 v[2:3], v[62:63], v[58:59]
	v_mul_f64 v[18:19], v[60:61], v[58:59]
	s_delay_alu instid0(VALU_DEP_2) | instskip(SKIP_2) | instid1(VALU_DEP_4)
	v_fma_f64 v[88:89], v[60:61], v[56:57], v[2:3]
	v_add_co_u32 v2, vcc_lo, 0x8000, v132
	v_add_co_ci_u32_e32 v3, vcc_lo, 0, v133, vcc_lo
	v_fma_f64 v[90:91], v[62:63], v[56:57], -v[18:19]
	v_add_co_u32 v0, vcc_lo, v0, s2
	global_load_b128 v[56:59], v[2:3], off offset:2432
	v_add_co_ci_u32_e32 v1, vcc_lo, s3, v1, vcc_lo
	global_load_b128 v[68:71], v[0:1], off
	v_add_co_u32 v0, vcc_lo, v0, s2
	v_add_co_ci_u32_e32 v1, vcc_lo, s3, v1, vcc_lo
	global_load_b128 v[72:75], v[0:1], off
	s_waitcnt vmcnt(2)
	v_mul_f64 v[2:3], v[66:67], v[58:59]
	v_mul_f64 v[18:19], v[64:65], v[58:59]
	scratch_store_b128 off, v[56:59], off offset:248 ; 16-byte Folded Spill
	v_fma_f64 v[92:93], v[64:65], v[56:57], v[2:3]
	v_fma_f64 v[94:95], v[66:67], v[56:57], -v[18:19]
	global_load_b128 v[56:59], v[16:17], off offset:640
	s_waitcnt vmcnt(0)
	v_mul_f64 v[2:3], v[70:71], v[58:59]
	v_mul_f64 v[16:17], v[68:69], v[58:59]
	scratch_store_b128 off, v[56:59], off offset:264 ; 16-byte Folded Spill
	v_fma_f64 v[96:97], v[68:69], v[56:57], v[2:3]
	v_add_co_u32 v2, vcc_lo, 0xb000, v132
	v_add_co_ci_u32_e32 v3, vcc_lo, 0, v133, vcc_lo
	v_fma_f64 v[98:99], v[70:71], v[56:57], -v[16:17]
	v_add_co_u32 v0, vcc_lo, v0, s2
	global_load_b128 v[56:59], v[2:3], off offset:2944
	v_add_co_ci_u32_e32 v1, vcc_lo, s3, v1, vcc_lo
	global_load_b128 v[76:79], v[0:1], off
	s_waitcnt vmcnt(1)
	v_mul_f64 v[2:3], v[74:75], v[58:59]
	v_mul_f64 v[16:17], v[72:73], v[58:59]
	scratch_store_b128 off, v[56:59], off offset:280 ; 16-byte Folded Spill
	v_fma_f64 v[100:101], v[72:73], v[56:57], v[2:3]
	v_add_co_u32 v2, vcc_lo, 0xd000, v132
	v_add_co_ci_u32_e32 v3, vcc_lo, 0, v133, vcc_lo
	v_fma_f64 v[102:103], v[74:75], v[56:57], -v[16:17]
	v_add_co_u32 v0, vcc_lo, v0, s2
	global_load_b128 v[56:59], v[2:3], off offset:1152
	v_add_co_ci_u32_e32 v1, vcc_lo, s3, v1, vcc_lo
	s_mov_b32 s2, 0x4755a5e
	s_mov_b32 s3, 0x3fe2cf23
	;; [unrolled: 1-line block ×3, first 2 shown]
	s_waitcnt vmcnt(0)
	v_mul_f64 v[16:17], v[76:77], v[58:59]
	v_mul_f64 v[2:3], v[78:79], v[58:59]
	s_delay_alu instid0(VALU_DEP_2)
	v_fma_f64 v[106:107], v[78:79], v[56:57], -v[16:17]
	global_load_b128 v[16:19], v[108:109], off offset:3456
	global_load_b128 v[108:111], v[0:1], off
	v_fma_f64 v[104:105], v[76:77], v[56:57], v[2:3]
	scratch_store_b128 off, v[56:59], off offset:296 ; 16-byte Folded Spill
	s_waitcnt vmcnt(1)
	scratch_store_b128 off, v[16:19], off offset:312 ; 16-byte Folded Spill
	s_waitcnt vmcnt(0)
	v_mul_f64 v[0:1], v[110:111], v[18:19]
	v_mul_f64 v[2:3], v[108:109], v[18:19]
	s_delay_alu instid0(VALU_DEP_2) | instskip(NEXT) | instid1(VALU_DEP_2)
	v_fma_f64 v[108:109], v[108:109], v[16:17], v[0:1]
	v_fma_f64 v[110:111], v[110:111], v[16:17], -v[2:3]
	ds_store_b128 v143, v[4:7]
	ds_store_b128 v143, v[8:11] offset:6400
	ds_store_b128 v143, v[12:15] offset:12800
	;; [unrolled: 1-line block ×19, first 2 shown]
	s_load_b128 s[4:7], s[6:7], 0x0
	s_waitcnt lgkmcnt(0)
	s_waitcnt_vscnt null, 0x0
	s_barrier
	buffer_gl0_inv
	ds_load_b128 v[36:39], v143
	ds_load_b128 v[40:43], v143 offset:12800
	ds_load_b128 v[4:7], v143 offset:25600
	;; [unrolled: 1-line block ×3, first 2 shown]
	s_waitcnt lgkmcnt(2)
	v_add_f64 v[0:1], v[36:37], v[40:41]
	s_waitcnt lgkmcnt(1)
	v_add_f64 v[24:25], v[40:41], -v[4:5]
	s_waitcnt lgkmcnt(0)
	v_add_f64 v[28:29], v[4:5], v[8:9]
	v_add_f64 v[12:13], v[6:7], -v[10:11]
	v_add_f64 v[20:21], v[4:5], -v[40:41]
	v_add_f64 v[30:31], v[6:7], v[10:11]
	v_add_f64 v[14:15], v[4:5], -v[8:9]
	v_add_f64 v[26:27], v[42:43], -v[6:7]
	;; [unrolled: 1-line block ×3, first 2 shown]
	v_add_f64 v[34:35], v[0:1], v[4:5]
	v_add_f64 v[0:1], v[38:39], v[42:43]
	v_fma_f64 v[174:175], v[28:29], -0.5, v[36:37]
	s_delay_alu instid0(VALU_DEP_3) | instskip(NEXT) | instid1(VALU_DEP_3)
	v_add_f64 v[18:19], v[34:35], v[8:9]
	v_add_f64 v[32:33], v[0:1], v[6:7]
	ds_load_b128 v[4:7], v143 offset:51200
	s_waitcnt lgkmcnt(0)
	v_add_f64 v[16:17], v[42:43], -v[6:7]
	v_add_f64 v[80:81], v[40:41], v[4:5]
	v_add_f64 v[1:2], v[40:41], -v[4:5]
	v_add_f64 v[82:83], v[42:43], v[6:7]
	v_add_f64 v[52:53], v[4:5], -v[8:9]
	v_add_f64 v[54:55], v[8:9], -v[4:5]
	;; [unrolled: 1-line block ×4, first 2 shown]
	v_add_f64 v[18:19], v[18:19], v[4:5]
	v_add_f64 v[32:33], v[32:33], v[10:11]
	;; [unrolled: 1-line block ×3, first 2 shown]
	s_delay_alu instid0(VALU_DEP_4) | instskip(NEXT) | instid1(VALU_DEP_3)
	v_add_f64 v[58:59], v[22:23], v[58:59]
	v_add_f64 v[60:61], v[32:33], v[6:7]
	ds_load_b128 v[4:7], v143 offset:6400
	ds_load_b128 v[8:11], v143 offset:19200
	;; [unrolled: 1-line block ×4, first 2 shown]
	s_waitcnt lgkmcnt(2)
	v_add_f64 v[44:45], v[4:5], v[8:9]
	v_add_f64 v[46:47], v[6:7], v[10:11]
	s_waitcnt lgkmcnt(1)
	v_add_f64 v[62:63], v[10:11], -v[34:35]
	s_waitcnt lgkmcnt(0)
	v_add_f64 v[64:65], v[8:9], -v[40:41]
	v_add_f64 v[66:67], v[8:9], v[32:33]
	v_add_f64 v[68:69], v[10:11], v[34:35]
	v_add_f64 v[70:71], v[40:41], -v[8:9]
	v_add_f64 v[72:73], v[8:9], -v[32:33]
	;; [unrolled: 1-line block ×4, first 2 shown]
	ds_load_b128 v[8:11], v143 offset:44800
	s_waitcnt lgkmcnt(0)
	v_add_f64 v[78:79], v[40:41], v[8:9]
	v_add_f64 v[84:85], v[42:43], -v[10:11]
	v_add_f64 v[86:87], v[42:43], v[10:11]
	v_add_f64 v[88:89], v[40:41], -v[8:9]
	v_add_f64 v[90:91], v[32:33], -v[8:9]
	;; [unrolled: 1-line block ×5, first 2 shown]
	v_add_f64 v[44:45], v[44:45], v[40:41]
	v_add_f64 v[46:47], v[46:47], v[42:43]
	v_fma_f64 v[78:79], v[78:79], -0.5, v[4:5]
	s_delay_alu instid0(VALU_DEP_3) | instskip(NEXT) | instid1(VALU_DEP_3)
	v_add_f64 v[40:41], v[44:45], v[8:9]
	v_add_f64 v[42:43], v[46:47], v[10:11]
	s_delay_alu instid0(VALU_DEP_2) | instskip(NEXT) | instid1(VALU_DEP_2)
	v_add_f64 v[98:99], v[40:41], v[32:33]
	v_add_f64 v[100:101], v[42:43], v[34:35]
	ds_load_b128 v[8:11], v143 offset:3200
	ds_load_b128 v[32:35], v143 offset:16000
	ds_load_b128 v[40:43], v143 offset:54400
	ds_load_b128 v[44:47], v143 offset:28800
	s_waitcnt lgkmcnt(2)
	v_add_f64 v[48:49], v[8:9], v[32:33]
	v_add_f64 v[50:51], v[10:11], v[34:35]
	s_waitcnt lgkmcnt(1)
	v_add_f64 v[102:103], v[32:33], v[40:41]
	v_add_f64 v[104:105], v[34:35], v[42:43]
	v_add_f64 v[106:107], v[34:35], -v[42:43]
	s_waitcnt lgkmcnt(0)
	v_add_f64 v[108:109], v[32:33], -v[44:45]
	v_add_f64 v[110:111], v[44:45], -v[32:33]
	;; [unrolled: 1-line block ×5, first 2 shown]
	ds_load_b128 v[32:35], v143 offset:41600
	s_waitcnt lgkmcnt(0)
	v_add_f64 v[118:119], v[44:45], v[32:33]
	v_add_f64 v[120:121], v[46:47], v[34:35]
	v_add_f64 v[122:123], v[46:47], -v[34:35]
	v_add_f64 v[124:125], v[44:45], -v[32:33]
	;; [unrolled: 1-line block ×6, first 2 shown]
	v_add_f64 v[48:49], v[48:49], v[44:45]
	v_add_f64 v[50:51], v[50:51], v[46:47]
	v_fma_f64 v[102:103], v[102:103], -0.5, v[8:9]
	v_fma_f64 v[104:105], v[104:105], -0.5, v[10:11]
	s_delay_alu instid0(VALU_DEP_4) | instskip(NEXT) | instid1(VALU_DEP_4)
	v_add_f64 v[44:45], v[48:49], v[32:33]
	v_add_f64 v[46:47], v[50:51], v[34:35]
	s_delay_alu instid0(VALU_DEP_2) | instskip(NEXT) | instid1(VALU_DEP_2)
	v_add_f64 v[136:137], v[44:45], v[40:41]
	v_add_f64 v[138:139], v[46:47], v[42:43]
	ds_load_b128 v[32:35], v143 offset:9600
	ds_load_b128 v[40:43], v143 offset:22400
	;; [unrolled: 1-line block ×4, first 2 shown]
	s_waitcnt lgkmcnt(2)
	v_add_f64 v[140:141], v[32:33], v[40:41]
	v_add_f64 v[144:145], v[34:35], v[42:43]
	s_waitcnt lgkmcnt(1)
	v_add_f64 v[146:147], v[42:43], -v[46:47]
	s_waitcnt lgkmcnt(0)
	v_add_f64 v[148:149], v[40:41], -v[48:49]
	v_add_f64 v[150:151], v[40:41], v[44:45]
	v_add_f64 v[152:153], v[48:49], -v[40:41]
	v_add_f64 v[154:155], v[42:43], v[46:47]
	v_add_f64 v[156:157], v[40:41], -v[44:45]
	v_add_f64 v[158:159], v[42:43], -v[50:51]
	;; [unrolled: 1-line block ×3, first 2 shown]
	ds_load_b128 v[40:43], v143 offset:48000
	s_waitcnt lgkmcnt(0)
	s_barrier
	buffer_gl0_inv
	v_add_f64 v[162:163], v[48:49], v[40:41]
	v_add_f64 v[164:165], v[50:51], v[42:43]
	v_add_f64 v[166:167], v[48:49], -v[40:41]
	v_add_f64 v[168:169], v[50:51], -v[42:43]
	;; [unrolled: 1-line block ×4, first 2 shown]
	v_add_f64 v[140:141], v[140:141], v[48:49]
	v_add_f64 v[144:145], v[144:145], v[50:51]
	v_fma_f64 v[150:151], v[150:151], -0.5, v[32:33]
	v_fma_f64 v[154:155], v[154:155], -0.5, v[34:35]
	s_delay_alu instid0(VALU_DEP_4) | instskip(NEXT) | instid1(VALU_DEP_4)
	v_add_f64 v[48:49], v[140:141], v[40:41]
	v_add_f64 v[50:51], v[144:145], v[42:43]
	v_add_f64 v[140:141], v[44:45], -v[40:41]
	v_add_f64 v[144:145], v[40:41], -v[44:45]
	s_delay_alu instid0(VALU_DEP_4) | instskip(NEXT) | instid1(VALU_DEP_4)
	v_add_f64 v[40:41], v[48:49], v[44:45]
	v_add_f64 v[42:43], v[50:51], v[46:47]
	v_fma_f64 v[48:49], v[66:67], -0.5, v[4:5]
	v_fma_f64 v[66:67], v[86:87], -0.5, v[6:7]
	v_fma_f64 v[50:51], v[68:69], -0.5, v[6:7]
	v_fma_f64 v[68:69], v[118:119], -0.5, v[8:9]
	v_add_f64 v[4:5], v[18:19], v[98:99]
	v_add_f64 v[8:9], v[18:19], -v[98:99]
	v_add_f64 v[18:19], v[24:25], v[52:53]
	v_fma_f64 v[24:25], v[62:63], s[14:15], v[78:79]
	v_add_f64 v[52:53], v[26:27], v[56:57]
	v_add_f64 v[56:57], v[64:65], v[90:91]
	v_fma_f64 v[118:119], v[120:121], -0.5, v[10:11]
	v_add_f64 v[6:7], v[60:61], v[100:101]
	v_add_f64 v[10:11], v[60:61], -v[100:101]
	v_add_f64 v[60:61], v[74:75], v[94:95]
	v_fma_f64 v[44:45], v[80:81], -0.5, v[36:37]
	v_fma_f64 v[80:81], v[30:31], -0.5, v[38:39]
	;; [unrolled: 1-line block ×3, first 2 shown]
	v_add_f64 v[64:65], v[70:71], v[92:93]
	v_add_f64 v[70:71], v[76:77], v[96:97]
	v_fma_f64 v[120:121], v[162:163], -0.5, v[32:33]
	v_fma_f64 v[162:163], v[164:165], -0.5, v[34:35]
	v_add_f64 v[28:29], v[136:137], v[40:41]
	v_add_f64 v[32:33], v[136:137], -v[40:41]
	v_fma_f64 v[22:23], v[84:85], s[16:17], v[48:49]
	v_fma_f64 v[26:27], v[72:73], s[16:17], v[66:67]
	;; [unrolled: 1-line block ×3, first 2 shown]
	v_add_f64 v[30:31], v[138:139], v[42:43]
	v_add_f64 v[34:35], v[138:139], -v[42:43]
	v_fma_f64 v[48:49], v[84:85], s[14:15], v[48:49]
	v_fma_f64 v[50:51], v[88:89], s[16:17], v[50:51]
	;; [unrolled: 1-line block ×14, first 2 shown]
	v_mul_f64 v[36:37], v[24:25], s[22:23]
	v_mul_f64 v[24:25], v[24:25], s[8:9]
	s_delay_alu instid0(VALU_DEP_2) | instskip(NEXT) | instid1(VALU_DEP_2)
	v_fma_f64 v[36:37], v[26:27], s[2:3], v[36:37]
	v_fma_f64 v[38:39], v[26:27], s[22:23], v[24:25]
	;; [unrolled: 1-line block ×4, first 2 shown]
	s_delay_alu instid0(VALU_DEP_2) | instskip(NEXT) | instid1(VALU_DEP_2)
	v_fma_f64 v[24:25], v[12:13], s[2:3], v[24:25]
	v_fma_f64 v[26:27], v[14:15], s[8:9], v[26:27]
	s_delay_alu instid0(VALU_DEP_2) | instskip(NEXT) | instid1(VALU_DEP_2)
	v_fma_f64 v[40:41], v[18:19], s[12:13], v[24:25]
	v_fma_f64 v[42:43], v[52:53], s[12:13], v[26:27]
	s_delay_alu instid0(VALU_DEP_2) | instskip(SKIP_2) | instid1(VALU_DEP_4)
	v_add_f64 v[24:25], v[40:41], v[36:37]
	v_add_f64 v[36:37], v[40:41], -v[36:37]
	v_mul_f64 v[40:41], v[20:21], s[14:15]
	v_add_f64 v[26:27], v[42:43], v[38:39]
	v_add_f64 v[38:39], v[42:43], -v[38:39]
	s_delay_alu instid0(VALU_DEP_3) | instskip(SKIP_1) | instid1(VALU_DEP_1)
	v_fma_f64 v[40:41], v[22:23], s[12:13], v[40:41]
	v_mul_f64 v[22:23], v[22:23], s[16:17]
	v_fma_f64 v[42:43], v[20:21], s[12:13], v[22:23]
	v_fma_f64 v[20:21], v[12:13], s[16:17], v[44:45]
	;; [unrolled: 1-line block ×4, first 2 shown]
	s_delay_alu instid0(VALU_DEP_3) | instskip(NEXT) | instid1(VALU_DEP_3)
	v_fma_f64 v[20:21], v[16:17], s[2:3], v[20:21]
	v_fma_f64 v[44:45], v[16:17], s[8:9], v[44:45]
	s_delay_alu instid0(VALU_DEP_3) | instskip(SKIP_1) | instid1(VALU_DEP_4)
	v_fma_f64 v[22:23], v[1:2], s[8:9], v[22:23]
	v_fma_f64 v[16:17], v[16:17], s[16:17], v[174:175]
	;; [unrolled: 1-line block ×3, first 2 shown]
	s_delay_alu instid0(VALU_DEP_4)
	v_fma_f64 v[54:55], v[54:55], s[12:13], v[44:45]
	v_fma_f64 v[44:45], v[14:15], s[16:17], v[46:47]
	;; [unrolled: 1-line block ×4, first 2 shown]
	v_add_f64 v[20:21], v[74:75], v[40:41]
	v_add_f64 v[40:41], v[74:75], -v[40:41]
	v_fma_f64 v[44:45], v[1:2], s[2:3], v[44:45]
	v_fma_f64 v[0:1], v[1:2], s[14:15], v[80:81]
	;; [unrolled: 1-line block ×3, first 2 shown]
	v_add_f64 v[22:23], v[76:77], v[42:43]
	v_add_f64 v[42:43], v[76:77], -v[42:43]
	v_fma_f64 v[58:59], v[58:59], s[12:13], v[44:45]
	v_mul_f64 v[44:45], v[48:49], s[18:19]
	v_fma_f64 v[0:1], v[14:15], s[2:3], v[0:1]
	s_delay_alu instid0(VALU_DEP_2) | instskip(SKIP_1) | instid1(VALU_DEP_3)
	v_fma_f64 v[64:65], v[50:51], s[14:15], v[44:45]
	v_mul_f64 v[44:45], v[50:51], s[18:19]
	v_fma_f64 v[0:1], v[52:53], s[12:13], v[0:1]
	s_delay_alu instid0(VALU_DEP_2) | instskip(NEXT) | instid1(VALU_DEP_4)
	v_fma_f64 v[50:51], v[48:49], s[16:17], v[44:45]
	v_add_f64 v[44:45], v[54:55], v[64:65]
	v_add_f64 v[48:49], v[54:55], -v[64:65]
	v_fma_f64 v[54:55], v[62:63], s[16:17], v[78:79]
	v_fma_f64 v[62:63], v[112:113], s[16:17], v[118:119]
	;; [unrolled: 1-line block ×3, first 2 shown]
	v_mov_b32_e32 v79, v176
	s_delay_alu instid0(VALU_DEP_1)
	v_cmp_gt_u16_e32 vcc_lo, 0x64, v79
	v_add_f64 v[46:47], v[58:59], v[50:51]
	v_add_f64 v[50:51], v[58:59], -v[50:51]
	v_fma_f64 v[58:59], v[72:73], s[14:15], v[66:67]
	v_fma_f64 v[2:3], v[84:85], s[8:9], v[54:55]
	;; [unrolled: 1-line block ×13, first 2 shown]
	v_mul_f64 v[12:13], v[2:3], s[20:21]
	v_fma_f64 v[56:57], v[168:169], s[2:3], v[56:57]
	v_fma_f64 v[58:59], v[166:167], s[8:9], v[58:59]
	s_delay_alu instid0(VALU_DEP_3) | instskip(SKIP_1) | instid1(VALU_DEP_2)
	v_fma_f64 v[18:19], v[14:15], s[2:3], v[12:13]
	v_mul_f64 v[12:13], v[14:15], s[20:21]
	v_add_f64 v[52:53], v[16:17], -v[18:19]
	s_delay_alu instid0(VALU_DEP_2) | instskip(SKIP_3) | instid1(VALU_DEP_4)
	v_fma_f64 v[2:3], v[2:3], s[8:9], v[12:13]
	v_add_f64 v[12:13], v[16:17], v[18:19]
	v_add_f64 v[16:17], v[148:149], v[140:141]
	;; [unrolled: 1-line block ×4, first 2 shown]
	v_add_f64 v[54:55], v[0:1], -v[2:3]
	s_delay_alu instid0(VALU_DEP_4) | instskip(NEXT) | instid1(VALU_DEP_4)
	v_fma_f64 v[56:57], v[16:17], s[12:13], v[56:57]
	v_fma_f64 v[58:59], v[18:19], s[12:13], v[58:59]
	v_add_f64 v[2:3], v[114:115], v[130:131]
	v_add_f64 v[0:1], v[108:109], v[126:127]
	s_delay_alu instid0(VALU_DEP_4) | instskip(SKIP_1) | instid1(VALU_DEP_4)
	v_mul_f64 v[60:61], v[56:57], s[22:23]
	v_mul_f64 v[56:57], v[56:57], s[8:9]
	v_fma_f64 v[62:63], v[2:3], s[12:13], v[62:63]
	s_delay_alu instid0(VALU_DEP_3) | instskip(NEXT) | instid1(VALU_DEP_3)
	v_fma_f64 v[60:61], v[58:59], s[2:3], v[60:61]
	v_fma_f64 v[56:57], v[58:59], s[22:23], v[56:57]
	;; [unrolled: 1-line block ×3, first 2 shown]
	s_delay_alu instid0(VALU_DEP_2) | instskip(NEXT) | instid1(VALU_DEP_2)
	v_add_f64 v[82:83], v[62:63], v[56:57]
	v_fma_f64 v[58:59], v[122:123], s[2:3], v[58:59]
	v_add_f64 v[86:87], v[62:63], -v[56:57]
	v_add_f64 v[62:63], v[160:161], v[172:173]
	v_add_f64 v[56:57], v[110:111], v[128:129]
	s_delay_alu instid0(VALU_DEP_4) | instskip(NEXT) | instid1(VALU_DEP_3)
	v_fma_f64 v[58:59], v[0:1], s[12:13], v[58:59]
	v_fma_f64 v[64:65], v[62:63], s[12:13], v[64:65]
	s_delay_alu instid0(VALU_DEP_2) | instskip(SKIP_2) | instid1(VALU_DEP_4)
	v_add_f64 v[80:81], v[58:59], v[60:61]
	v_add_f64 v[84:85], v[58:59], -v[60:61]
	v_add_f64 v[60:61], v[152:153], v[144:145]
	v_mul_f64 v[70:71], v[64:65], s[14:15]
	v_add_f64 v[58:59], v[116:117], v[134:135]
	s_delay_alu instid0(VALU_DEP_3) | instskip(NEXT) | instid1(VALU_DEP_2)
	v_fma_f64 v[66:67], v[60:61], s[12:13], v[66:67]
	v_fma_f64 v[72:73], v[58:59], s[12:13], v[72:73]
	s_delay_alu instid0(VALU_DEP_2) | instskip(SKIP_1) | instid1(VALU_DEP_1)
	v_fma_f64 v[70:71], v[66:67], s[12:13], v[70:71]
	v_mul_f64 v[66:67], v[66:67], s[16:17]
	v_fma_f64 v[64:65], v[64:65], s[12:13], v[66:67]
	v_fma_f64 v[66:67], v[122:123], s[16:17], v[102:103]
	s_delay_alu instid0(VALU_DEP_2) | instskip(SKIP_2) | instid1(VALU_DEP_4)
	v_add_f64 v[90:91], v[72:73], v[64:65]
	v_add_f64 v[94:95], v[72:73], -v[64:65]
	v_fma_f64 v[64:65], v[168:169], s[14:15], v[150:151]
	v_fma_f64 v[66:67], v[106:107], s[2:3], v[66:67]
	s_delay_alu instid0(VALU_DEP_2) | instskip(NEXT) | instid1(VALU_DEP_2)
	v_fma_f64 v[64:65], v[146:147], s[8:9], v[64:65]
	v_fma_f64 v[66:67], v[56:57], s[12:13], v[66:67]
	s_delay_alu instid0(VALU_DEP_2) | instskip(SKIP_1) | instid1(VALU_DEP_3)
	v_fma_f64 v[60:61], v[60:61], s[12:13], v[64:65]
	v_fma_f64 v[64:65], v[166:167], s[16:17], v[154:155]
	v_add_f64 v[88:89], v[66:67], v[70:71]
	v_add_f64 v[92:93], v[66:67], -v[70:71]
	s_delay_alu instid0(VALU_DEP_3) | instskip(NEXT) | instid1(VALU_DEP_1)
	v_fma_f64 v[64:65], v[156:157], s[2:3], v[64:65]
	v_fma_f64 v[62:63], v[62:63], s[12:13], v[64:65]
	;; [unrolled: 1-line block ×3, first 2 shown]
	s_delay_alu instid0(VALU_DEP_1) | instskip(NEXT) | instid1(VALU_DEP_1)
	v_fma_f64 v[64:65], v[106:107], s[8:9], v[64:65]
	v_fma_f64 v[56:57], v[56:57], s[12:13], v[64:65]
	;; [unrolled: 1-line block ×3, first 2 shown]
	s_delay_alu instid0(VALU_DEP_1) | instskip(NEXT) | instid1(VALU_DEP_1)
	v_fma_f64 v[64:65], v[112:113], s[2:3], v[64:65]
	v_fma_f64 v[58:59], v[58:59], s[12:13], v[64:65]
	v_mul_f64 v[64:65], v[60:61], s[18:19]
	s_delay_alu instid0(VALU_DEP_1) | instskip(SKIP_1) | instid1(VALU_DEP_2)
	v_fma_f64 v[64:65], v[62:63], s[14:15], v[64:65]
	v_mul_f64 v[62:63], v[62:63], s[18:19]
	v_add_f64 v[96:97], v[56:57], v[64:65]
	s_delay_alu instid0(VALU_DEP_2) | instskip(SKIP_3) | instid1(VALU_DEP_4)
	v_fma_f64 v[60:61], v[60:61], s[16:17], v[62:63]
	v_add_f64 v[100:101], v[56:57], -v[64:65]
	v_fma_f64 v[56:57], v[146:147], s[16:17], v[120:121]
	v_fma_f64 v[62:63], v[112:113], s[14:15], v[118:119]
	v_add_f64 v[98:99], v[58:59], v[60:61]
	v_add_f64 v[102:103], v[58:59], -v[60:61]
	v_fma_f64 v[58:59], v[156:157], s[14:15], v[162:163]
	v_fma_f64 v[56:57], v[168:169], s[8:9], v[56:57]
	;; [unrolled: 1-line block ×4, first 2 shown]
	s_delay_alu instid0(VALU_DEP_4) | instskip(NEXT) | instid1(VALU_DEP_4)
	v_fma_f64 v[58:59], v[166:167], s[2:3], v[58:59]
	v_fma_f64 v[16:17], v[16:17], s[12:13], v[56:57]
	s_delay_alu instid0(VALU_DEP_4) | instskip(NEXT) | instid1(VALU_DEP_4)
	v_fma_f64 v[60:61], v[122:123], s[8:9], v[60:61]
	v_fma_f64 v[2:3], v[2:3], s[12:13], v[62:63]
	s_delay_alu instid0(VALU_DEP_4) | instskip(NEXT) | instid1(VALU_DEP_4)
	v_fma_f64 v[18:19], v[18:19], s[12:13], v[58:59]
	v_mul_f64 v[56:57], v[16:17], s[20:21]
	s_delay_alu instid0(VALU_DEP_4) | instskip(NEXT) | instid1(VALU_DEP_2)
	v_fma_f64 v[0:1], v[0:1], s[12:13], v[60:61]
	v_fma_f64 v[56:57], v[18:19], s[2:3], v[56:57]
	v_mul_f64 v[18:19], v[18:19], s[20:21]
	s_delay_alu instid0(VALU_DEP_2) | instskip(NEXT) | instid1(VALU_DEP_2)
	v_add_f64 v[104:105], v[0:1], v[56:57]
	v_fma_f64 v[16:17], v[16:17], s[8:9], v[18:19]
	v_add_f64 v[108:109], v[0:1], -v[56:57]
	v_mul_lo_u16 v0, v176, 10
	v_add_co_u32 v1, null, 0xc8, v142
	s_delay_alu instid0(VALU_DEP_2) | instskip(NEXT) | instid1(VALU_DEP_1)
	v_and_b32_e32 v0, 0xffff, v0
	v_lshlrev_b32_e32 v137, 4, v0
	s_delay_alu instid0(VALU_DEP_3)
	v_mul_u32_u24_e32 v0, 10, v1
	ds_store_b128 v137, v[4:7]
	ds_store_b128 v137, v[8:11] offset:80
	ds_store_b128 v137, v[24:27] offset:16
	ds_store_b128 v137, v[20:23] offset:32
	ds_store_b128 v137, v[44:47] offset:48
	ds_store_b128 v137, v[12:15] offset:64
	ds_store_b128 v137, v[36:39] offset:96
	ds_store_b128 v137, v[40:43] offset:112
	ds_store_b128 v137, v[48:51] offset:128
	ds_store_b128 v137, v[52:55] offset:144
	v_lshlrev_b32_e32 v136, 4, v0
	v_and_b32_e32 v0, 0xff, v176
	s_delay_alu instid0(VALU_DEP_1) | instskip(SKIP_2) | instid1(VALU_DEP_3)
	v_mul_lo_u16 v0, 0xcd, v0
	v_add_f64 v[106:107], v[2:3], v[16:17]
	v_add_f64 v[110:111], v[2:3], -v[16:17]
	v_lshrrev_b16 v16, 11, v0
	ds_store_b128 v136, v[28:31]
	ds_store_b128 v136, v[80:83] offset:16
	ds_store_b128 v136, v[88:91] offset:32
	;; [unrolled: 1-line block ×9, first 2 shown]
	v_mul_lo_u16 v0, v16, 10
	s_waitcnt lgkmcnt(0)
	s_barrier
	buffer_gl0_inv
	ds_load_b128 v[4:7], v143 offset:6400
	v_sub_nc_u16 v0, v176, v0
	s_delay_alu instid0(VALU_DEP_1) | instskip(SKIP_1) | instid1(VALU_DEP_2)
	v_and_b32_e32 v2, 0xff, v0
	v_and_b32_e32 v0, 0xffff, v1
	v_mad_u64_u32 v[8:9], null, 0x90, v2, s[10:11]
	s_delay_alu instid0(VALU_DEP_2) | instskip(NEXT) | instid1(VALU_DEP_1)
	v_mul_u32_u24_e32 v0, 0xcccd, v0
	v_lshrrev_b32_e32 v41, 19, v0
	s_clause 0x1
	global_load_b128 v[12:15], v[8:9], off
	global_load_b128 v[80:83], v[8:9], off offset:128
	v_mul_lo_u16 v0, v41, 10
	s_delay_alu instid0(VALU_DEP_1) | instskip(NEXT) | instid1(VALU_DEP_1)
	v_sub_nc_u16 v42, v1, v0
	v_mul_lo_u16 v0, 0x90, v42
	s_delay_alu instid0(VALU_DEP_1)
	v_and_b32_e32 v0, 0xffff, v0
	s_waitcnt vmcnt(1) lgkmcnt(0)
	v_mul_f64 v[10:11], v[6:7], v[14:15]
	scratch_store_b128 off, v[12:15], off offset:328 ; 16-byte Folded Spill
	v_fma_f64 v[126:127], v[4:5], v[12:13], -v[10:11]
	v_mul_f64 v[3:4], v[4:5], v[14:15]
	s_delay_alu instid0(VALU_DEP_1)
	v_fma_f64 v[130:131], v[6:7], v[12:13], v[3:4]
	global_load_b128 v[12:15], v[8:9], off offset:16
	ds_load_b128 v[4:7], v143 offset:12800
	s_waitcnt vmcnt(0) lgkmcnt(0)
	v_mul_f64 v[10:11], v[6:7], v[14:15]
	scratch_store_b128 off, v[12:15], off offset:344 ; 16-byte Folded Spill
	v_fma_f64 v[176:177], v[4:5], v[12:13], -v[10:11]
	v_mul_f64 v[3:4], v[4:5], v[14:15]
	s_delay_alu instid0(VALU_DEP_1)
	v_fma_f64 v[178:179], v[6:7], v[12:13], v[3:4]
	global_load_b128 v[12:15], v[8:9], off offset:32
	ds_load_b128 v[4:7], v143 offset:19200
	s_waitcnt vmcnt(0) lgkmcnt(0)
	v_mul_f64 v[10:11], v[6:7], v[14:15]
	scratch_store_b128 off, v[12:15], off offset:360 ; 16-byte Folded Spill
	v_fma_f64 v[174:175], v[4:5], v[12:13], -v[10:11]
	v_mul_f64 v[3:4], v[4:5], v[14:15]
	s_delay_alu instid0(VALU_DEP_1)
	v_fma_f64 v[182:183], v[6:7], v[12:13], v[3:4]
	global_load_b128 v[12:15], v[8:9], off offset:48
	ds_load_b128 v[4:7], v143 offset:25600
	s_waitcnt vmcnt(0) lgkmcnt(0)
	v_mul_f64 v[10:11], v[6:7], v[14:15]
	scratch_store_b128 off, v[12:15], off offset:376 ; 16-byte Folded Spill
	v_fma_f64 v[188:189], v[4:5], v[12:13], -v[10:11]
	v_mul_f64 v[3:4], v[4:5], v[14:15]
	s_delay_alu instid0(VALU_DEP_1)
	v_fma_f64 v[190:191], v[6:7], v[12:13], v[3:4]
	global_load_b128 v[12:15], v[8:9], off offset:64
	ds_load_b128 v[4:7], v143 offset:32000
	v_add_f64 v[47:48], v[190:191], -v[178:179]
	s_waitcnt vmcnt(0) lgkmcnt(0)
	v_mul_f64 v[10:11], v[6:7], v[14:15]
	scratch_store_b128 off, v[12:15], off offset:392 ; 16-byte Folded Spill
	v_fma_f64 v[192:193], v[4:5], v[12:13], -v[10:11]
	v_mul_f64 v[3:4], v[4:5], v[14:15]
	s_delay_alu instid0(VALU_DEP_2) | instskip(NEXT) | instid1(VALU_DEP_2)
	v_add_f64 v[120:121], v[192:193], -v[174:175]
	v_fma_f64 v[194:195], v[6:7], v[12:13], v[3:4]
	global_load_b128 v[12:15], v[8:9], off offset:80
	ds_load_b128 v[4:7], v143 offset:38400
	v_add_f64 v[51:52], v[194:195], -v[182:183]
	s_waitcnt vmcnt(0) lgkmcnt(0)
	v_mul_f64 v[10:11], v[6:7], v[14:15]
	scratch_store_b128 off, v[12:15], off offset:408 ; 16-byte Folded Spill
	v_fma_f64 v[196:197], v[4:5], v[12:13], -v[10:11]
	v_mul_f64 v[3:4], v[4:5], v[14:15]
	s_delay_alu instid0(VALU_DEP_2) | instskip(NEXT) | instid1(VALU_DEP_2)
	v_add_f64 v[116:117], v[188:189], -v[196:197]
	v_fma_f64 v[198:199], v[6:7], v[12:13], v[3:4]
	global_load_b128 v[12:15], v[8:9], off offset:96
	ds_load_b128 v[4:7], v143 offset:44800
	;; [unrolled: 11-line block ×3, first 2 shown]
	v_add_f64 v[96:97], v[194:195], -v[202:203]
	s_waitcnt vmcnt(0) lgkmcnt(0)
	v_mul_f64 v[10:11], v[6:7], v[14:15]
	scratch_store_b128 off, v[12:15], off offset:440 ; 16-byte Folded Spill
	v_fma_f64 v[206:207], v[4:5], v[12:13], -v[10:11]
	v_mul_f64 v[3:4], v[4:5], v[14:15]
	s_delay_alu instid0(VALU_DEP_2) | instskip(NEXT) | instid1(VALU_DEP_2)
	v_add_f64 v[114:115], v[176:177], -v[206:207]
	v_fma_f64 v[208:209], v[6:7], v[12:13], v[3:4]
	ds_load_b128 v[4:7], v143 offset:57600
	s_waitcnt lgkmcnt(0)
	v_mul_f64 v[8:9], v[6:7], v[82:83]
	v_add_f64 v[106:107], v[178:179], -v[208:209]
	v_add_f64 v[49:50], v[198:199], -v[208:209]
	s_delay_alu instid0(VALU_DEP_3) | instskip(SKIP_1) | instid1(VALU_DEP_1)
	v_fma_f64 v[210:211], v[4:5], v[80:81], -v[8:9]
	v_add_co_u32 v8, s24, s10, v0
	v_add_co_ci_u32_e64 v9, null, s11, 0, s24
	v_and_b32_e32 v0, 0xffff, v16
	s_clause 0x4
	global_load_b128 v[164:167], v[8:9], off offset:128
	global_load_b128 v[92:95], v[8:9], off
	global_load_b128 v[102:105], v[8:9], off offset:16
	global_load_b128 v[98:101], v[8:9], off offset:48
	;; [unrolled: 1-line block ×3, first 2 shown]
	v_mul_f64 v[3:4], v[4:5], v[82:83]
	s_clause 0x1
	global_load_b128 v[108:111], v[8:9], off offset:80
	global_load_b128 v[160:163], v[8:9], off offset:112
	v_mul_u32_u24_e32 v0, 0x64, v0
	v_add_f64 v[138:139], v[47:48], v[49:50]
	v_add_f64 v[73:74], v[174:175], -v[210:211]
	v_add_f64 v[134:135], v[174:175], v[210:211]
	v_add_f64 v[122:123], v[200:201], -v[210:211]
	v_fma_f64 v[214:215], v[6:7], v[80:81], v[3:4]
	ds_load_b128 v[4:7], v143 offset:9600
	v_add_f64 v[120:121], v[120:121], v[122:123]
	v_add_f64 v[77:78], v[182:183], -v[214:215]
	v_add_f64 v[53:54], v[182:183], v[214:215]
	v_add_f64 v[118:119], v[202:203], -v[214:215]
	s_delay_alu instid0(VALU_DEP_2) | instskip(NEXT) | instid1(VALU_DEP_2)
	v_fma_f64 v[53:54], v[53:54], -0.5, v[130:131]
	v_add_f64 v[51:52], v[51:52], v[118:119]
	v_fma_f64 v[118:119], v[134:135], -0.5, v[126:127]
	s_waitcnt vmcnt(5) lgkmcnt(0)
	v_mul_f64 v[10:11], v[6:7], v[94:95]
	s_waitcnt vmcnt(2)
	scratch_store_b128 off, v[12:15], off offset:456 ; 16-byte Folded Spill
	v_fma_f64 v[24:25], v[4:5], v[92:93], -v[10:11]
	v_mul_f64 v[3:4], v[4:5], v[94:95]
	s_delay_alu instid0(VALU_DEP_1) | instskip(SKIP_3) | instid1(VALU_DEP_1)
	v_fma_f64 v[26:27], v[6:7], v[92:93], v[3:4]
	ds_load_b128 v[4:7], v143 offset:16000
	s_waitcnt lgkmcnt(0)
	v_mul_f64 v[10:11], v[6:7], v[104:105]
	v_fma_f64 v[30:31], v[4:5], v[102:103], -v[10:11]
	v_mul_f64 v[3:4], v[4:5], v[104:105]
	s_delay_alu instid0(VALU_DEP_1) | instskip(SKIP_3) | instid1(VALU_DEP_1)
	v_fma_f64 v[84:85], v[6:7], v[102:103], v[3:4]
	ds_load_b128 v[4:7], v143 offset:22400
	s_waitcnt lgkmcnt(0)
	v_mul_f64 v[10:11], v[6:7], v[14:15]
	v_fma_f64 v[28:29], v[4:5], v[12:13], -v[10:11]
	v_mul_f64 v[3:4], v[4:5], v[14:15]
	s_delay_alu instid0(VALU_DEP_1) | instskip(SKIP_4) | instid1(VALU_DEP_1)
	v_fma_f64 v[86:87], v[6:7], v[12:13], v[3:4]
	global_load_b128 v[12:15], v[8:9], off offset:64
	ds_load_b128 v[4:7], v143 offset:28800
	s_waitcnt lgkmcnt(0)
	v_mul_f64 v[10:11], v[6:7], v[100:101]
	v_fma_f64 v[88:89], v[4:5], v[98:99], -v[10:11]
	v_mul_f64 v[3:4], v[4:5], v[100:101]
	s_delay_alu instid0(VALU_DEP_1)
	v_fma_f64 v[90:91], v[6:7], v[98:99], v[3:4]
	ds_load_b128 v[4:7], v143 offset:35200
	s_waitcnt vmcnt(0) lgkmcnt(0)
	v_mul_f64 v[10:11], v[6:7], v[14:15]
	scratch_store_b128 off, v[12:15], off offset:472 ; 16-byte Folded Spill
	v_fma_f64 v[124:125], v[4:5], v[12:13], -v[10:11]
	v_mul_f64 v[3:4], v[4:5], v[14:15]
	s_delay_alu instid0(VALU_DEP_1) | instskip(SKIP_4) | instid1(VALU_DEP_1)
	v_fma_f64 v[128:129], v[6:7], v[12:13], v[3:4]
	global_load_b128 v[12:15], v[8:9], off offset:96
	ds_load_b128 v[4:7], v143 offset:41600
	s_waitcnt lgkmcnt(0)
	v_mul_f64 v[10:11], v[6:7], v[110:111]
	v_fma_f64 v[168:169], v[4:5], v[108:109], -v[10:11]
	v_mul_f64 v[3:4], v[4:5], v[110:111]
	s_delay_alu instid0(VALU_DEP_1)
	v_fma_f64 v[170:171], v[6:7], v[108:109], v[3:4]
	ds_load_b128 v[4:7], v143 offset:48000
	s_waitcnt vmcnt(0) lgkmcnt(0)
	v_mul_f64 v[10:11], v[6:7], v[14:15]
	scratch_store_b128 off, v[12:15], off offset:488 ; 16-byte Folded Spill
	v_fma_f64 v[172:173], v[4:5], v[12:13], -v[10:11]
	v_mul_f64 v[3:4], v[4:5], v[14:15]
	s_delay_alu instid0(VALU_DEP_1) | instskip(SKIP_3) | instid1(VALU_DEP_1)
	v_fma_f64 v[180:181], v[6:7], v[12:13], v[3:4]
	ds_load_b128 v[4:7], v143 offset:54400
	s_waitcnt lgkmcnt(0)
	v_mul_f64 v[10:11], v[6:7], v[162:163]
	v_fma_f64 v[184:185], v[4:5], v[160:161], -v[10:11]
	v_mul_f64 v[3:4], v[4:5], v[162:163]
	s_delay_alu instid0(VALU_DEP_1) | instskip(SKIP_3) | instid1(VALU_DEP_1)
	v_fma_f64 v[186:187], v[6:7], v[160:161], v[3:4]
	ds_load_b128 v[4:7], v143 offset:60800
	s_waitcnt lgkmcnt(0)
	v_mul_f64 v[8:9], v[6:7], v[166:167]
	v_fma_f64 v[204:205], v[4:5], v[164:165], -v[8:9]
	v_mul_f64 v[3:4], v[4:5], v[166:167]
	v_add_f64 v[8:9], v[188:189], v[196:197]
	s_delay_alu instid0(VALU_DEP_2) | instskip(SKIP_4) | instid1(VALU_DEP_1)
	v_fma_f64 v[212:213], v[6:7], v[164:165], v[3:4]
	ds_load_b128 v[4:7], v143
	s_waitcnt lgkmcnt(0)
	v_fma_f64 v[216:217], v[8:9], -0.5, v[4:5]
	v_add_f64 v[8:9], v[176:177], v[206:207]
	v_fma_f64 v[220:221], v[8:9], -0.5, v[4:5]
	v_add_f64 v[8:9], v[190:191], v[198:199]
	v_add_f64 v[3:4], v[4:5], v[176:177]
	s_delay_alu instid0(VALU_DEP_2) | instskip(SKIP_1) | instid1(VALU_DEP_3)
	v_fma_f64 v[218:219], v[8:9], -0.5, v[6:7]
	v_add_f64 v[8:9], v[178:179], v[208:209]
	v_add_f64 v[3:4], v[3:4], v[188:189]
	s_delay_alu instid0(VALU_DEP_2) | instskip(SKIP_4) | instid1(VALU_DEP_4)
	v_fma_f64 v[222:223], v[8:9], -0.5, v[6:7]
	v_add_f64 v[5:6], v[6:7], v[178:179]
	v_add_f64 v[7:8], v[126:127], v[174:175]
	;; [unrolled: 1-line block ×5, first 2 shown]
	s_delay_alu instid0(VALU_DEP_4) | instskip(NEXT) | instid1(VALU_DEP_4)
	v_add_f64 v[7:8], v[7:8], v[192:193]
	v_add_f64 v[9:10], v[9:10], v[194:195]
	s_delay_alu instid0(VALU_DEP_4) | instskip(NEXT) | instid1(VALU_DEP_4)
	v_add_f64 v[11:12], v[3:4], v[206:207]
	v_add_f64 v[5:6], v[5:6], v[198:199]
	;; [unrolled: 3-line block ×3, first 2 shown]
	s_delay_alu instid0(VALU_DEP_3) | instskip(NEXT) | instid1(VALU_DEP_3)
	v_add_f64 v[13:14], v[5:6], v[208:209]
	v_add_f64 v[17:18], v[7:8], v[210:211]
	s_delay_alu instid0(VALU_DEP_3) | instskip(NEXT) | instid1(VALU_DEP_2)
	v_add_f64 v[8:9], v[9:10], v[214:215]
	v_add_f64 v[4:5], v[11:12], v[17:18]
	s_delay_alu instid0(VALU_DEP_2)
	v_add_f64 v[6:7], v[13:14], v[8:9]
	v_add_f64 v[32:33], v[11:12], -v[17:18]
	v_add_f64 v[34:35], v[13:14], -v[8:9]
	v_add_f64 v[12:13], v[88:89], v[168:169]
	ds_load_b128 v[8:11], v143 offset:3200
	v_add_f64 v[14:15], v[26:27], v[86:87]
	s_waitcnt lgkmcnt(0)
	s_waitcnt_vscnt null, 0x0
	s_barrier
	buffer_gl0_inv
	v_fma_f64 v[17:18], v[12:13], -0.5, v[8:9]
	v_add_f64 v[12:13], v[30:31], v[184:185]
	v_add_f64 v[14:15], v[14:15], v[128:129]
	s_delay_alu instid0(VALU_DEP_2) | instskip(SKIP_2) | instid1(VALU_DEP_4)
	v_fma_f64 v[55:56], v[12:13], -0.5, v[8:9]
	v_add_f64 v[12:13], v[90:91], v[170:171]
	v_add_f64 v[8:9], v[8:9], v[30:31]
	v_add_f64 v[14:15], v[14:15], v[180:181]
	s_delay_alu instid0(VALU_DEP_3) | instskip(SKIP_1) | instid1(VALU_DEP_4)
	v_fma_f64 v[57:58], v[12:13], -0.5, v[10:11]
	v_add_f64 v[12:13], v[84:85], v[186:187]
	v_add_f64 v[8:9], v[8:9], v[88:89]
	s_delay_alu instid0(VALU_DEP_4) | instskip(NEXT) | instid1(VALU_DEP_3)
	v_add_f64 v[21:22], v[14:15], v[212:213]
	v_fma_f64 v[59:60], v[12:13], -0.5, v[10:11]
	v_add_f64 v[10:11], v[10:11], v[84:85]
	v_add_f64 v[12:13], v[24:25], v[28:29]
	;; [unrolled: 1-line block ×3, first 2 shown]
	s_delay_alu instid0(VALU_DEP_3) | instskip(NEXT) | instid1(VALU_DEP_3)
	v_add_f64 v[10:11], v[10:11], v[90:91]
	v_add_f64 v[12:13], v[12:13], v[124:125]
	s_delay_alu instid0(VALU_DEP_3) | instskip(NEXT) | instid1(VALU_DEP_3)
	v_add_f64 v[8:9], v[8:9], v[184:185]
	v_add_f64 v[10:11], v[10:11], v[170:171]
	s_delay_alu instid0(VALU_DEP_3) | instskip(NEXT) | instid1(VALU_DEP_2)
	v_add_f64 v[12:13], v[12:13], v[172:173]
	v_add_f64 v[10:11], v[10:11], v[186:187]
	s_delay_alu instid0(VALU_DEP_2) | instskip(NEXT) | instid1(VALU_DEP_2)
	v_add_f64 v[19:20], v[12:13], v[204:205]
	v_add_f64 v[14:15], v[10:11], v[21:22]
	s_delay_alu instid0(VALU_DEP_2) | instskip(SKIP_4) | instid1(VALU_DEP_1)
	v_add_f64 v[12:13], v[8:9], v[19:20]
	v_add_f64 v[8:9], v[8:9], -v[19:20]
	v_add_f64 v[10:11], v[10:11], -v[21:22]
	;; [unrolled: 1-line block ×4, first 2 shown]
	v_add_f64 v[61:62], v[19:20], v[21:22]
	v_add_f64 v[19:20], v[178:179], -v[190:191]
	v_add_f64 v[21:22], v[208:209], -v[198:199]
	s_delay_alu instid0(VALU_DEP_1) | instskip(SKIP_2) | instid1(VALU_DEP_1)
	v_add_f64 v[63:64], v[19:20], v[21:22]
	v_add_f64 v[19:20], v[174:175], -v[192:193]
	v_add_f64 v[21:22], v[210:211], -v[200:201]
	v_add_f64 v[65:66], v[19:20], v[21:22]
	v_add_f64 v[19:20], v[182:183], -v[194:195]
	v_add_f64 v[21:22], v[214:215], -v[202:203]
	s_delay_alu instid0(VALU_DEP_1) | instskip(SKIP_1) | instid1(VALU_DEP_1)
	v_add_f64 v[67:68], v[19:20], v[21:22]
	v_add_f64 v[19:20], v[192:193], v[200:201]
	v_fma_f64 v[69:70], v[19:20], -0.5, v[126:127]
	v_add_f64 v[19:20], v[194:195], v[202:203]
	s_delay_alu instid0(VALU_DEP_2) | instskip(NEXT) | instid1(VALU_DEP_2)
	v_fma_f64 v[21:22], v[77:78], s[14:15], v[69:70]
	v_fma_f64 v[71:72], v[19:20], -0.5, v[130:131]
	v_fma_f64 v[69:70], v[77:78], s[16:17], v[69:70]
	s_delay_alu instid0(VALU_DEP_3) | instskip(NEXT) | instid1(VALU_DEP_3)
	v_fma_f64 v[21:22], v[96:97], s[2:3], v[21:22]
	v_fma_f64 v[19:20], v[73:74], s[16:17], v[71:72]
	;; [unrolled: 1-line block ×3, first 2 shown]
	s_delay_alu instid0(VALU_DEP_4) | instskip(NEXT) | instid1(VALU_DEP_4)
	v_fma_f64 v[69:70], v[96:97], s[8:9], v[69:70]
	v_fma_f64 v[21:22], v[65:66], s[12:13], v[21:22]
	s_delay_alu instid0(VALU_DEP_4) | instskip(NEXT) | instid1(VALU_DEP_4)
	v_fma_f64 v[19:20], v[75:76], s[8:9], v[19:20]
	v_fma_f64 v[71:72], v[75:76], s[2:3], v[71:72]
	s_delay_alu instid0(VALU_DEP_4) | instskip(NEXT) | instid1(VALU_DEP_3)
	v_fma_f64 v[65:66], v[65:66], s[12:13], v[69:70]
	v_fma_f64 v[19:20], v[67:68], s[12:13], v[19:20]
	s_delay_alu instid0(VALU_DEP_3) | instskip(NEXT) | instid1(VALU_DEP_3)
	v_fma_f64 v[67:68], v[67:68], s[12:13], v[71:72]
	v_mul_f64 v[69:70], v[65:66], s[20:21]
	v_add_f64 v[71:72], v[128:129], v[180:181]
	s_delay_alu instid0(VALU_DEP_4) | instskip(NEXT) | instid1(VALU_DEP_3)
	v_mul_f64 v[36:37], v[19:20], s[2:3]
	v_fma_f64 v[69:70], v[67:68], s[2:3], v[69:70]
	v_mul_f64 v[67:68], v[67:68], s[20:21]
	s_delay_alu instid0(VALU_DEP_4) | instskip(NEXT) | instid1(VALU_DEP_4)
	v_fma_f64 v[71:72], v[71:72], -0.5, v[26:27]
	v_fma_f64 v[36:37], v[21:22], s[22:23], v[36:37]
	v_mul_f64 v[21:22], v[21:22], s[8:9]
	s_delay_alu instid0(VALU_DEP_4) | instskip(SKIP_1) | instid1(VALU_DEP_3)
	v_fma_f64 v[65:66], v[65:66], s[8:9], v[67:68]
	v_add_f64 v[67:68], v[204:205], -v[172:173]
	v_fma_f64 v[38:39], v[19:20], s[22:23], v[21:22]
	v_fma_f64 v[19:20], v[106:107], s[14:15], v[216:217]
	;; [unrolled: 1-line block ×3, first 2 shown]
	s_delay_alu instid0(VALU_DEP_2) | instskip(NEXT) | instid1(VALU_DEP_2)
	v_fma_f64 v[19:20], v[112:113], s[2:3], v[19:20]
	v_fma_f64 v[21:22], v[116:117], s[8:9], v[21:22]
	s_delay_alu instid0(VALU_DEP_2) | instskip(NEXT) | instid1(VALU_DEP_2)
	v_fma_f64 v[43:44], v[61:62], s[12:13], v[19:20]
	v_fma_f64 v[45:46], v[63:64], s[12:13], v[21:22]
	s_delay_alu instid0(VALU_DEP_2) | instskip(NEXT) | instid1(VALU_DEP_2)
	v_add_f64 v[20:21], v[43:44], v[36:37]
	v_add_f64 v[22:23], v[45:46], v[38:39]
	v_add_f64 v[36:37], v[43:44], -v[36:37]
	v_add_f64 v[38:39], v[45:46], -v[38:39]
	;; [unrolled: 1-line block ×4, first 2 shown]
	s_delay_alu instid0(VALU_DEP_1)
	v_add_f64 v[130:131], v[43:44], v[45:46]
	v_fma_f64 v[43:44], v[75:76], s[14:15], v[53:54]
	v_fma_f64 v[45:46], v[96:97], s[16:17], v[118:119]
	;; [unrolled: 1-line block ×4, first 2 shown]
	v_add_f64 v[75:76], v[124:125], -v[172:173]
	v_add_f64 v[96:97], v[86:87], -v[212:213]
	v_fma_f64 v[43:44], v[73:74], s[8:9], v[43:44]
	v_fma_f64 v[45:46], v[77:78], s[2:3], v[45:46]
	v_fma_f64 v[118:119], v[77:78], s[8:9], v[118:119]
	v_fma_f64 v[77:78], v[106:107], s[16:17], v[216:217]
	v_fma_f64 v[53:54], v[73:74], s[2:3], v[53:54]
	v_fma_f64 v[43:44], v[51:52], s[12:13], v[43:44]
	v_fma_f64 v[45:46], v[120:121], s[12:13], v[45:46]
	v_fma_f64 v[118:119], v[120:121], s[12:13], v[118:119]
	v_fma_f64 v[73:74], v[112:113], s[8:9], v[77:78]
	v_fma_f64 v[51:52], v[51:52], s[12:13], v[53:54]
	v_mul_f64 v[47:48], v[43:44], s[14:15]
	s_delay_alu instid0(VALU_DEP_4) | instskip(NEXT) | instid1(VALU_DEP_4)
	v_mul_f64 v[53:54], v[118:119], s[18:19]
	v_fma_f64 v[61:62], v[61:62], s[12:13], v[73:74]
	v_add_f64 v[73:74], v[28:29], -v[204:205]
	s_delay_alu instid0(VALU_DEP_4)
	v_fma_f64 v[47:48], v[45:46], s[12:13], v[47:48]
	v_mul_f64 v[45:46], v[45:46], s[16:17]
	v_fma_f64 v[120:121], v[51:52], s[14:15], v[53:54]
	v_add_f64 v[188:189], v[61:62], v[69:70]
	v_add_f64 v[192:193], v[61:62], -v[69:70]
	v_add_f64 v[61:62], v[30:31], -v[88:89]
	;; [unrolled: 1-line block ×3, first 2 shown]
	v_mul_f64 v[51:52], v[51:52], s[18:19]
	v_fma_f64 v[49:50], v[43:44], s[12:13], v[45:46]
	v_fma_f64 v[43:44], v[112:113], s[16:17], v[220:221]
	;; [unrolled: 1-line block ×3, first 2 shown]
	s_delay_alu instid0(VALU_DEP_4) | instskip(NEXT) | instid1(VALU_DEP_3)
	v_fma_f64 v[118:119], v[118:119], s[16:17], v[51:52]
	v_fma_f64 v[43:44], v[106:107], s[2:3], v[43:44]
	s_delay_alu instid0(VALU_DEP_3) | instskip(NEXT) | instid1(VALU_DEP_2)
	v_fma_f64 v[45:46], v[114:115], s[8:9], v[45:46]
	v_fma_f64 v[122:123], v[130:131], s[12:13], v[43:44]
	s_delay_alu instid0(VALU_DEP_2) | instskip(NEXT) | instid1(VALU_DEP_2)
	v_fma_f64 v[126:127], v[138:139], s[12:13], v[45:46]
	v_add_f64 v[43:44], v[122:123], v[47:48]
	v_add_f64 v[47:48], v[122:123], -v[47:48]
	v_fma_f64 v[122:123], v[112:113], s[14:15], v[220:221]
	s_delay_alu instid0(VALU_DEP_4) | instskip(SKIP_2) | instid1(VALU_DEP_4)
	v_add_f64 v[45:46], v[126:127], v[49:50]
	v_add_f64 v[49:50], v[126:127], -v[49:50]
	v_fma_f64 v[126:127], v[116:117], s[16:17], v[222:223]
	v_fma_f64 v[122:123], v[106:107], s[8:9], v[122:123]
	;; [unrolled: 1-line block ×3, first 2 shown]
	s_delay_alu instid0(VALU_DEP_3) | instskip(NEXT) | instid1(VALU_DEP_3)
	v_fma_f64 v[126:127], v[114:115], s[2:3], v[126:127]
	v_fma_f64 v[122:123], v[130:131], s[12:13], v[122:123]
	s_delay_alu instid0(VALU_DEP_3) | instskip(SKIP_1) | instid1(VALU_DEP_4)
	v_fma_f64 v[77:78], v[116:117], s[2:3], v[106:107]
	v_add_f64 v[106:107], v[128:129], -v[180:181]
	v_fma_f64 v[126:127], v[138:139], s[12:13], v[126:127]
	v_add_f64 v[116:117], v[90:91], -v[170:171]
	v_add_lshl_u32 v138, v0, v2, 4
	v_mad_u16 v0, 0x64, v41, v42
	s_delay_alu instid0(VALU_DEP_1)
	v_and_b32_e32 v0, 0xffff, v0
	v_add_f64 v[51:52], v[122:123], v[120:121]
	v_fma_f64 v[63:64], v[63:64], s[12:13], v[77:78]
	v_fma_f64 v[77:78], v[73:74], s[16:17], v[71:72]
	v_add_f64 v[174:175], v[122:123], -v[120:121]
	v_add_f64 v[120:121], v[30:31], -v[184:185]
	v_add_f64 v[53:54], v[126:127], v[118:119]
	v_add_f64 v[176:177], v[126:127], -v[118:119]
	v_add_f64 v[122:123], v[88:89], -v[168:169]
	v_add_f64 v[30:31], v[88:89], -v[30:31]
	v_add_f64 v[88:89], v[170:171], -v[186:187]
	v_add_f64 v[190:191], v[63:64], v[65:66]
	v_add_f64 v[194:195], v[63:64], -v[65:66]
	v_add_f64 v[63:64], v[184:185], -v[168:169]
	;; [unrolled: 1-line block ×3, first 2 shown]
	v_fma_f64 v[77:78], v[75:76], s[8:9], v[77:78]
	v_fma_f64 v[126:127], v[120:121], s[16:17], v[57:58]
	ds_store_b128 v138, v[4:7]
	ds_store_b128 v138, v[32:35] offset:800
	ds_store_b128 v138, v[20:23] offset:160
	;; [unrolled: 1-line block ×9, first 2 shown]
	v_mov_b32_e32 v51, v142
	v_add_f64 v[61:62], v[61:62], v[63:64]
	v_add_f64 v[63:64], v[84:85], -v[90:91]
	v_fma_f64 v[126:127], v[122:123], s[8:9], v[126:127]
	s_delay_alu instid0(VALU_DEP_2) | instskip(SKIP_1) | instid1(VALU_DEP_2)
	v_add_f64 v[63:64], v[63:64], v[65:66]
	v_add_f64 v[65:66], v[28:29], -v[124:125]
	v_fma_f64 v[126:127], v[63:64], s[12:13], v[126:127]
	s_delay_alu instid0(VALU_DEP_2) | instskip(SKIP_1) | instid1(VALU_DEP_1)
	v_add_f64 v[65:66], v[65:66], v[67:68]
	v_add_f64 v[67:68], v[86:87], -v[128:129]
	v_add_f64 v[67:68], v[67:68], v[69:70]
	v_add_f64 v[69:70], v[124:125], v[172:173]
	s_delay_alu instid0(VALU_DEP_2) | instskip(NEXT) | instid1(VALU_DEP_2)
	v_fma_f64 v[77:78], v[67:68], s[12:13], v[77:78]
	v_fma_f64 v[69:70], v[69:70], -0.5, v[24:25]
	s_delay_alu instid0(VALU_DEP_2) | instskip(NEXT) | instid1(VALU_DEP_2)
	v_mul_f64 v[114:115], v[77:78], s[2:3]
	v_fma_f64 v[112:113], v[96:97], s[14:15], v[69:70]
	s_delay_alu instid0(VALU_DEP_1) | instskip(NEXT) | instid1(VALU_DEP_1)
	v_fma_f64 v[112:113], v[106:107], s[2:3], v[112:113]
	v_fma_f64 v[112:113], v[65:66], s[12:13], v[112:113]
	s_delay_alu instid0(VALU_DEP_1) | instskip(SKIP_1) | instid1(VALU_DEP_1)
	v_fma_f64 v[114:115], v[112:113], s[22:23], v[114:115]
	v_mul_f64 v[112:113], v[112:113], s[8:9]
	v_fma_f64 v[77:78], v[77:78], s[22:23], v[112:113]
	v_add_f64 v[112:113], v[84:85], -v[186:187]
	v_add_f64 v[84:85], v[90:91], -v[84:85]
	;; [unrolled: 1-line block ×3, first 2 shown]
	v_add_f64 v[86:87], v[86:87], v[212:213]
	v_add_f64 v[198:199], v[126:127], v[77:78]
	v_fma_f64 v[118:119], v[112:113], s[14:15], v[17:18]
	v_add_f64 v[202:203], v[126:127], -v[77:78]
	v_add_f64 v[77:78], v[168:169], -v[184:185]
	v_fma_f64 v[126:127], v[86:87], -0.5, v[26:27]
	v_fma_f64 v[17:18], v[112:113], s[16:17], v[17:18]
	v_fma_f64 v[118:119], v[116:117], s[2:3], v[118:119]
	s_delay_alu instid0(VALU_DEP_4) | instskip(SKIP_1) | instid1(VALU_DEP_4)
	v_add_f64 v[30:31], v[30:31], v[77:78]
	v_add_f64 v[77:78], v[84:85], v[88:89]
	v_fma_f64 v[17:18], v[116:117], s[8:9], v[17:18]
	s_delay_alu instid0(VALU_DEP_4) | instskip(NEXT) | instid1(VALU_DEP_2)
	v_fma_f64 v[118:119], v[61:62], s[12:13], v[118:119]
	v_fma_f64 v[17:18], v[61:62], s[12:13], v[17:18]
	s_delay_alu instid0(VALU_DEP_2)
	v_add_f64 v[196:197], v[118:119], v[114:115]
	v_add_f64 v[200:201], v[118:119], -v[114:115]
	v_add_f64 v[118:119], v[124:125], -v[28:29]
	v_add_f64 v[28:29], v[28:29], v[204:205]
	v_add_f64 v[114:115], v[180:181], -v[212:213]
	v_add_f64 v[124:125], v[172:173], -v[204:205]
	s_delay_alu instid0(VALU_DEP_3) | instskip(SKIP_1) | instid1(VALU_DEP_4)
	v_fma_f64 v[28:29], v[28:29], -0.5, v[24:25]
	v_fma_f64 v[24:25], v[75:76], s[14:15], v[126:127]
	v_add_f64 v[90:91], v[90:91], v[114:115]
	s_delay_alu instid0(VALU_DEP_4) | instskip(NEXT) | instid1(VALU_DEP_4)
	v_add_f64 v[88:89], v[118:119], v[124:125]
	v_fma_f64 v[26:27], v[106:107], s[16:17], v[28:29]
	s_delay_alu instid0(VALU_DEP_4) | instskip(SKIP_1) | instid1(VALU_DEP_3)
	v_fma_f64 v[24:25], v[73:74], s[8:9], v[24:25]
	v_fma_f64 v[28:29], v[106:107], s[14:15], v[28:29]
	;; [unrolled: 1-line block ×3, first 2 shown]
	s_delay_alu instid0(VALU_DEP_3) | instskip(NEXT) | instid1(VALU_DEP_3)
	v_fma_f64 v[24:25], v[90:91], s[12:13], v[24:25]
	v_fma_f64 v[28:29], v[96:97], s[8:9], v[28:29]
	s_delay_alu instid0(VALU_DEP_3) | instskip(NEXT) | instid1(VALU_DEP_3)
	v_fma_f64 v[26:27], v[88:89], s[12:13], v[26:27]
	v_mul_f64 v[84:85], v[24:25], s[14:15]
	s_delay_alu instid0(VALU_DEP_3) | instskip(NEXT) | instid1(VALU_DEP_2)
	v_fma_f64 v[28:29], v[88:89], s[12:13], v[28:29]
	v_fma_f64 v[84:85], v[26:27], s[12:13], v[84:85]
	v_mul_f64 v[26:27], v[26:27], s[16:17]
	s_delay_alu instid0(VALU_DEP_1) | instskip(SKIP_3) | instid1(VALU_DEP_3)
	v_fma_f64 v[86:87], v[24:25], s[12:13], v[26:27]
	v_fma_f64 v[24:25], v[116:117], s[16:17], v[55:56]
	;; [unrolled: 1-line block ×5, first 2 shown]
	s_delay_alu instid0(VALU_DEP_3) | instskip(NEXT) | instid1(VALU_DEP_3)
	v_fma_f64 v[55:56], v[112:113], s[8:9], v[55:56]
	v_fma_f64 v[26:27], v[120:121], s[8:9], v[26:27]
	s_delay_alu instid0(VALU_DEP_3) | instskip(NEXT) | instid1(VALU_DEP_3)
	v_fma_f64 v[114:115], v[30:31], s[12:13], v[24:25]
	v_fma_f64 v[30:31], v[30:31], s[12:13], v[55:56]
	;; [unrolled: 1-line block ×5, first 2 shown]
	v_add_f64 v[24:25], v[114:115], v[84:85]
	v_add_f64 v[84:85], v[114:115], -v[84:85]
	v_fma_f64 v[55:56], v[120:121], s[2:3], v[55:56]
	v_fma_f64 v[59:60], v[73:74], s[2:3], v[59:60]
	v_add_f64 v[26:27], v[118:119], v[86:87]
	v_add_f64 v[86:87], v[118:119], -v[86:87]
	s_delay_alu instid0(VALU_DEP_4) | instskip(NEXT) | instid1(VALU_DEP_4)
	v_fma_f64 v[55:56], v[77:78], s[12:13], v[55:56]
	v_fma_f64 v[59:60], v[90:91], s[12:13], v[59:60]
	v_mul_f64 v[77:78], v[28:29], s[18:19]
	s_delay_alu instid0(VALU_DEP_1) | instskip(SKIP_1) | instid1(VALU_DEP_2)
	v_fma_f64 v[77:78], v[59:60], s[14:15], v[77:78]
	v_mul_f64 v[59:60], v[59:60], s[18:19]
	v_add_f64 v[88:89], v[30:31], v[77:78]
	s_delay_alu instid0(VALU_DEP_2) | instskip(SKIP_4) | instid1(VALU_DEP_1)
	v_fma_f64 v[28:29], v[28:29], s[16:17], v[59:60]
	v_add_f64 v[124:125], v[30:31], -v[77:78]
	v_fma_f64 v[30:31], v[73:74], s[14:15], v[71:72]
	v_lshlrev_b32_e32 v78, 4, v0
	v_add_nc_u32_e32 v0, 0xffffff9c, v142
	v_cndmask_b32_e32 v50, v0, v142, vcc_lo
	s_delay_alu instid0(VALU_DEP_1) | instskip(SKIP_1) | instid1(VALU_DEP_2)
	v_mul_i32_i24_e32 v0, 0x90, v50
	v_mul_hi_i32_i24_e32 v3, 0x90, v50
	v_add_co_u32 v2, vcc_lo, s10, v0
	s_delay_alu instid0(VALU_DEP_2) | instskip(SKIP_2) | instid1(VALU_DEP_2)
	v_add_co_ci_u32_e32 v3, vcc_lo, s11, v3, vcc_lo
	v_lshrrev_b16 v0, 2, v1
	v_cmp_lt_u16_e32 vcc_lo, 0x63, v79
	v_and_b32_e32 v0, 0xffff, v0
	s_delay_alu instid0(VALU_DEP_1)
	v_mul_u32_u24_e32 v0, 0x147b, v0
	v_add_f64 v[90:91], v[55:56], v[28:29]
	v_add_f64 v[126:127], v[55:56], -v[28:29]
	v_fma_f64 v[28:29], v[96:97], s[16:17], v[69:70]
	v_fma_f64 v[30:31], v[75:76], s[2:3], v[30:31]
	;; [unrolled: 1-line block ×3, first 2 shown]
	s_delay_alu instid0(VALU_DEP_3) | instskip(NEXT) | instid1(VALU_DEP_3)
	v_fma_f64 v[28:29], v[106:107], s[8:9], v[28:29]
	v_fma_f64 v[30:31], v[67:68], s[12:13], v[30:31]
	s_delay_alu instid0(VALU_DEP_3) | instskip(NEXT) | instid1(VALU_DEP_3)
	v_fma_f64 v[55:56], v[122:123], s[2:3], v[55:56]
	v_fma_f64 v[28:29], v[65:66], s[12:13], v[28:29]
	s_delay_alu instid0(VALU_DEP_2) | instskip(NEXT) | instid1(VALU_DEP_2)
	v_fma_f64 v[55:56], v[63:64], s[12:13], v[55:56]
	v_mul_f64 v[57:58], v[28:29], s[20:21]
	s_delay_alu instid0(VALU_DEP_1) | instskip(SKIP_1) | instid1(VALU_DEP_2)
	v_fma_f64 v[57:58], v[30:31], s[2:3], v[57:58]
	v_mul_f64 v[30:31], v[30:31], s[20:21]
	v_add_f64 v[128:129], v[17:18], v[57:58]
	s_delay_alu instid0(VALU_DEP_2) | instskip(SKIP_1) | instid1(VALU_DEP_2)
	v_fma_f64 v[28:29], v[28:29], s[8:9], v[30:31]
	v_add_f64 v[168:169], v[17:18], -v[57:58]
	v_add_f64 v[130:131], v[55:56], v[28:29]
	v_add_f64 v[170:171], v[55:56], -v[28:29]
	ds_store_b128 v78, v[12:15]
	ds_store_b128 v78, v[196:199] offset:160
	ds_store_b128 v78, v[24:27] offset:320
	;; [unrolled: 1-line block ×9, first 2 shown]
	s_waitcnt lgkmcnt(0)
	s_barrier
	buffer_gl0_inv
	s_clause 0x3
	global_load_b128 v[10:13], v[2:3], off offset:1440
	global_load_b128 v[224:227], v[2:3], off offset:1456
	;; [unrolled: 1-line block ×4, first 2 shown]
	ds_load_b128 v[4:7], v143 offset:6400
	ds_load_b128 v[38:41], v143 offset:3200
	s_clause 0x4
	global_load_b128 v[228:231], v[2:3], off offset:1504
	global_load_b128 v[236:239], v[2:3], off offset:1520
	;; [unrolled: 1-line block ×5, first 2 shown]
	s_waitcnt vmcnt(8) lgkmcnt(1)
	v_mul_f64 v[8:9], v[6:7], v[12:13]
	scratch_store_b128 off, v[10:13], off offset:520 ; 16-byte Folded Spill
	v_fma_f64 v[84:85], v[4:5], v[10:11], -v[8:9]
	v_mul_f64 v[4:5], v[4:5], v[12:13]
	s_delay_alu instid0(VALU_DEP_1) | instskip(SKIP_3) | instid1(VALU_DEP_1)
	v_fma_f64 v[86:87], v[6:7], v[10:11], v[4:5]
	ds_load_b128 v[4:7], v143 offset:12800
	s_waitcnt vmcnt(7) lgkmcnt(0)
	v_mul_f64 v[8:9], v[6:7], v[226:227]
	v_fma_f64 v[88:89], v[4:5], v[224:225], -v[8:9]
	v_mul_f64 v[4:5], v[4:5], v[226:227]
	s_delay_alu instid0(VALU_DEP_1) | instskip(SKIP_3) | instid1(VALU_DEP_1)
	v_fma_f64 v[90:91], v[6:7], v[224:225], v[4:5]
	ds_load_b128 v[4:7], v143 offset:19200
	s_waitcnt vmcnt(6) lgkmcnt(0)
	v_mul_f64 v[8:9], v[6:7], v[222:223]
	;; [unrolled: 7-line block ×5, first 2 shown]
	v_fma_f64 v[184:185], v[4:5], v[236:237], -v[8:9]
	v_mul_f64 v[4:5], v[4:5], v[238:239]
	s_delay_alu instid0(VALU_DEP_2) | instskip(NEXT) | instid1(VALU_DEP_2)
	v_add_f64 v[148:149], v[174:175], -v[184:185]
	v_fma_f64 v[186:187], v[6:7], v[236:237], v[4:5]
	ds_load_b128 v[4:7], v143 offset:44800
	s_waitcnt vmcnt(2) lgkmcnt(0)
	v_mul_f64 v[8:9], v[6:7], v[242:243]
	v_add_f64 v[122:123], v[176:177], -v[186:187]
	s_delay_alu instid0(VALU_DEP_2) | instskip(SKIP_1) | instid1(VALU_DEP_2)
	v_fma_f64 v[190:191], v[4:5], v[240:241], -v[8:9]
	v_mul_f64 v[4:5], v[4:5], v[242:243]
	v_add_f64 v[114:115], v[182:183], -v[190:191]
	s_delay_alu instid0(VALU_DEP_2) | instskip(SKIP_4) | instid1(VALU_DEP_2)
	v_fma_f64 v[188:189], v[6:7], v[240:241], v[4:5]
	ds_load_b128 v[4:7], v143 offset:51200
	s_waitcnt vmcnt(1) lgkmcnt(0)
	v_mul_f64 v[8:9], v[6:7], v[246:247]
	v_add_f64 v[118:119], v[180:181], -v[188:189]
	v_fma_f64 v[192:193], v[4:5], v[244:245], -v[8:9]
	ds_load_b128 v[8:11], v143 offset:57600
	v_mul_f64 v[4:5], v[4:5], v[246:247]
	s_waitcnt vmcnt(0) lgkmcnt(0)
	v_mul_f64 v[2:3], v[10:11], v[250:251]
	v_add_f64 v[134:135], v[88:89], -v[192:193]
	s_delay_alu instid0(VALU_DEP_3) | instskip(SKIP_1) | instid1(VALU_DEP_4)
	v_fma_f64 v[194:195], v[6:7], v[244:245], v[4:5]
	v_add_f64 v[6:7], v[86:87], v[128:129]
	v_fma_f64 v[20:21], v[8:9], v[248:249], -v[2:3]
	v_mul_f64 v[2:3], v[8:9], v[250:251]
	v_lshrrev_b32_e32 v9, 17, v0
	s_delay_alu instid0(VALU_DEP_1) | instskip(NEXT) | instid1(VALU_DEP_1)
	v_mul_lo_u16 v0, 0x64, v9
	v_sub_nc_u16 v32, v1, v0
	s_delay_alu instid0(VALU_DEP_1) | instskip(SKIP_2) | instid1(VALU_DEP_3)
	v_mul_lo_u16 v0, 0x90, v32
	v_add_f64 v[120:121], v[90:91], -v[194:195]
	v_add_f64 v[6:7], v[6:7], v[180:181]
	v_and_b32_e32 v0, 0xffff, v0
	s_delay_alu instid0(VALU_DEP_1) | instskip(NEXT) | instid1(VALU_DEP_1)
	v_add_co_u32 v0, s24, s10, v0
	v_add_co_ci_u32_e64 v1, null, s11, 0, s24
	s_clause 0x5
	global_load_b128 v[208:211], v[0:1], off offset:1440
	global_load_b128 v[144:147], v[0:1], off offset:1456
	;; [unrolled: 1-line block ×6, first 2 shown]
	v_fma_f64 v[18:19], v[10:11], v[248:249], v[2:3]
	ds_load_b128 v[10:13], v143 offset:9600
	s_clause 0x1
	global_load_b128 v[216:219], v[0:1], off offset:1536
	global_load_b128 v[70:73], v[0:1], off offset:1552
	v_add_f64 v[112:113], v[130:131], -v[20:21]
	v_add_f64 v[6:7], v[6:7], v[188:189]
	v_add_f64 v[116:117], v[128:129], -v[18:19]
	s_delay_alu instid0(VALU_DEP_2) | instskip(SKIP_2) | instid1(VALU_DEP_1)
	v_add_f64 v[6:7], v[6:7], v[18:19]
	s_waitcnt vmcnt(7) lgkmcnt(0)
	v_mul_f64 v[2:3], v[12:13], v[210:211]
	v_fma_f64 v[124:125], v[10:11], v[208:209], -v[2:3]
	v_mul_f64 v[2:3], v[10:11], v[210:211]
	s_delay_alu instid0(VALU_DEP_1) | instskip(SKIP_3) | instid1(VALU_DEP_1)
	v_fma_f64 v[126:127], v[12:13], v[208:209], v[2:3]
	ds_load_b128 v[10:13], v143 offset:16000
	s_waitcnt vmcnt(6) lgkmcnt(0)
	v_mul_f64 v[2:3], v[12:13], v[146:147]
	v_fma_f64 v[168:169], v[10:11], v[144:145], -v[2:3]
	v_mul_f64 v[2:3], v[10:11], v[146:147]
	s_delay_alu instid0(VALU_DEP_1) | instskip(SKIP_3) | instid1(VALU_DEP_1)
	v_fma_f64 v[170:171], v[12:13], v[144:145], v[2:3]
	ds_load_b128 v[10:13], v143 offset:22400
	;; [unrolled: 7-line block ×7, first 2 shown]
	s_waitcnt vmcnt(0) lgkmcnt(0)
	v_mul_f64 v[2:3], v[12:13], v[72:73]
	v_fma_f64 v[14:15], v[10:11], v[70:71], -v[2:3]
	v_mul_f64 v[2:3], v[10:11], v[72:73]
	s_delay_alu instid0(VALU_DEP_1)
	v_fma_f64 v[16:17], v[12:13], v[70:71], v[2:3]
	global_load_b128 v[2:5], v[0:1], off offset:1568
	ds_load_b128 v[10:13], v143 offset:60800
	s_waitcnt vmcnt(0) lgkmcnt(0)
	v_mul_f64 v[0:1], v[12:13], v[4:5]
	scratch_store_b128 off, v[2:5], off offset:536 ; 16-byte Folded Spill
	v_fma_f64 v[42:43], v[10:11], v[2:3], -v[0:1]
	v_mul_f64 v[0:1], v[10:11], v[4:5]
	v_add_f64 v[4:5], v[84:85], v[130:131]
	s_delay_alu instid0(VALU_DEP_2)
	v_fma_f64 v[24:25], v[12:13], v[2:3], v[0:1]
	v_add_f64 v[0:1], v[174:175], v[184:185]
	ds_load_b128 v[10:13], v143
	v_add_f64 v[4:5], v[4:5], v[182:183]
	s_waitcnt lgkmcnt(0)
	s_waitcnt_vscnt null, 0x0
	s_barrier
	buffer_gl0_inv
	v_add_f64 v[2:3], v[12:13], v[90:91]
	v_fma_f64 v[30:31], v[0:1], -0.5, v[10:11]
	v_add_f64 v[0:1], v[88:89], v[192:193]
	v_add_f64 v[4:5], v[4:5], v[190:191]
	s_delay_alu instid0(VALU_DEP_4) | instskip(NEXT) | instid1(VALU_DEP_3)
	v_add_f64 v[2:3], v[2:3], v[176:177]
	v_fma_f64 v[33:34], v[0:1], -0.5, v[10:11]
	v_add_f64 v[0:1], v[176:177], v[186:187]
	s_delay_alu instid0(VALU_DEP_4) | instskip(NEXT) | instid1(VALU_DEP_4)
	v_add_f64 v[4:5], v[4:5], v[20:21]
	v_add_f64 v[2:3], v[2:3], v[186:187]
	s_delay_alu instid0(VALU_DEP_3) | instskip(SKIP_1) | instid1(VALU_DEP_3)
	v_fma_f64 v[35:36], v[0:1], -0.5, v[12:13]
	v_add_f64 v[0:1], v[90:91], v[194:195]
	v_add_f64 v[2:3], v[2:3], v[194:195]
	s_delay_alu instid0(VALU_DEP_2) | instskip(SKIP_1) | instid1(VALU_DEP_3)
	v_fma_f64 v[44:45], v[0:1], -0.5, v[12:13]
	v_add_f64 v[0:1], v[10:11], v[88:89]
	v_add_f64 v[28:29], v[2:3], v[6:7]
	v_add_f64 v[12:13], v[2:3], -v[6:7]
	v_add_f64 v[2:3], v[40:41], v[170:171]
	v_add_f64 v[6:7], v[126:127], v[172:173]
	;; [unrolled: 1-line block ×3, first 2 shown]
	s_delay_alu instid0(VALU_DEP_3) | instskip(NEXT) | instid1(VALU_DEP_3)
	v_add_f64 v[2:3], v[2:3], v[198:199]
	v_add_f64 v[6:7], v[6:7], v[200:201]
	s_delay_alu instid0(VALU_DEP_3) | instskip(NEXT) | instid1(VALU_DEP_3)
	v_add_f64 v[0:1], v[0:1], v[184:185]
	v_add_f64 v[2:3], v[2:3], v[206:207]
	;; [unrolled: 3-line block ×4, first 2 shown]
	s_delay_alu instid0(VALU_DEP_3) | instskip(SKIP_3) | instid1(VALU_DEP_2)
	v_add_f64 v[26:27], v[0:1], v[4:5]
	v_add_f64 v[10:11], v[0:1], -v[4:5]
	v_add_f64 v[0:1], v[196:197], v[204:205]
	v_add_f64 v[4:5], v[124:125], v[178:179]
	v_fma_f64 v[46:47], v[0:1], -0.5, v[38:39]
	v_add_f64 v[0:1], v[168:169], v[14:15]
	s_delay_alu instid0(VALU_DEP_3) | instskip(NEXT) | instid1(VALU_DEP_2)
	v_add_f64 v[4:5], v[4:5], v[202:203]
	v_fma_f64 v[48:49], v[0:1], -0.5, v[38:39]
	v_add_f64 v[0:1], v[198:199], v[206:207]
	s_delay_alu instid0(VALU_DEP_3) | instskip(NEXT) | instid1(VALU_DEP_2)
	;; [unrolled: 4-line block ×3, first 2 shown]
	v_add_f64 v[4:5], v[4:5], v[42:43]
	v_fma_f64 v[54:55], v[0:1], -0.5, v[40:41]
	v_add_f64 v[0:1], v[38:39], v[168:169]
	v_add_f64 v[39:40], v[2:3], v[7:8]
	v_add_f64 v[7:8], v[2:3], -v[7:8]
	v_add_f64 v[2:3], v[192:193], -v[184:185]
	s_delay_alu instid0(VALU_DEP_4) | instskip(NEXT) | instid1(VALU_DEP_1)
	v_add_f64 v[0:1], v[0:1], v[196:197]
	v_add_f64 v[0:1], v[0:1], v[204:205]
	s_delay_alu instid0(VALU_DEP_1) | instskip(NEXT) | instid1(VALU_DEP_1)
	v_add_f64 v[0:1], v[0:1], v[14:15]
	v_add_f64 v[37:38], v[0:1], v[4:5]
	v_add_f64 v[5:6], v[0:1], -v[4:5]
	v_add_f64 v[0:1], v[88:89], -v[174:175]
	s_delay_alu instid0(VALU_DEP_1) | instskip(SKIP_4) | instid1(VALU_DEP_3)
	v_add_f64 v[56:57], v[0:1], v[2:3]
	v_add_f64 v[0:1], v[90:91], -v[176:177]
	v_add_f64 v[2:3], v[194:195], -v[186:187]
	;; [unrolled: 1-line block ×4, first 2 shown]
	v_add_f64 v[58:59], v[0:1], v[2:3]
	v_add_f64 v[0:1], v[130:131], -v[182:183]
	v_add_f64 v[2:3], v[20:21], -v[190:191]
	s_delay_alu instid0(VALU_DEP_1) | instskip(SKIP_4) | instid1(VALU_DEP_3)
	v_add_f64 v[64:65], v[0:1], v[2:3]
	v_add_f64 v[0:1], v[128:129], -v[180:181]
	v_add_f64 v[2:3], v[18:19], -v[188:189]
	v_add_f64 v[128:129], v[128:129], v[18:19]
	v_add_f64 v[18:19], v[188:189], -v[18:19]
	v_add_f64 v[66:67], v[0:1], v[2:3]
	v_add_f64 v[0:1], v[182:183], v[190:191]
	s_delay_alu instid0(VALU_DEP_4) | instskip(NEXT) | instid1(VALU_DEP_2)
	v_fma_f64 v[128:129], v[128:129], -0.5, v[86:87]
	v_fma_f64 v[96:97], v[0:1], -0.5, v[84:85]
	v_add_f64 v[0:1], v[180:181], v[188:189]
	s_delay_alu instid0(VALU_DEP_2) | instskip(NEXT) | instid1(VALU_DEP_2)
	v_fma_f64 v[2:3], v[116:117], s[14:15], v[96:97]
	v_fma_f64 v[106:107], v[0:1], -0.5, v[86:87]
	s_delay_alu instid0(VALU_DEP_2) | instskip(NEXT) | instid1(VALU_DEP_2)
	v_fma_f64 v[2:3], v[118:119], s[2:3], v[2:3]
	v_fma_f64 v[0:1], v[112:113], s[16:17], v[106:107]
	s_delay_alu instid0(VALU_DEP_2) | instskip(NEXT) | instid1(VALU_DEP_2)
	v_fma_f64 v[2:3], v[64:65], s[12:13], v[2:3]
	v_fma_f64 v[0:1], v[114:115], s[8:9], v[0:1]
	s_delay_alu instid0(VALU_DEP_1) | instskip(NEXT) | instid1(VALU_DEP_1)
	v_fma_f64 v[0:1], v[66:67], s[12:13], v[0:1]
	v_mul_f64 v[60:61], v[0:1], s[2:3]
	s_delay_alu instid0(VALU_DEP_1) | instskip(SKIP_1) | instid1(VALU_DEP_1)
	v_fma_f64 v[60:61], v[2:3], s[22:23], v[60:61]
	v_mul_f64 v[2:3], v[2:3], s[8:9]
	v_fma_f64 v[62:63], v[0:1], s[22:23], v[2:3]
	v_fma_f64 v[0:1], v[120:121], s[14:15], v[30:31]
	;; [unrolled: 1-line block ×4, first 2 shown]
	s_delay_alu instid0(VALU_DEP_3) | instskip(NEXT) | instid1(VALU_DEP_3)
	v_fma_f64 v[0:1], v[122:123], s[2:3], v[0:1]
	v_fma_f64 v[2:3], v[148:149], s[8:9], v[2:3]
	s_delay_alu instid0(VALU_DEP_3) | instskip(NEXT) | instid1(VALU_DEP_3)
	v_fma_f64 v[30:31], v[122:123], s[8:9], v[30:31]
	v_fma_f64 v[150:151], v[56:57], s[12:13], v[0:1]
	;; [unrolled: 3-line block ×3, first 2 shown]
	v_add_f64 v[56:57], v[200:201], v[212:213]
	v_cndmask_b32_e64 v0, 0, 0x3e8, vcc_lo
	s_delay_alu instid0(VALU_DEP_1) | instskip(SKIP_1) | instid1(VALU_DEP_1)
	v_add_lshl_u32 v79, v50, v0, 4
	v_mad_u16 v0, 0x3e8, v9, v32
	v_and_b32_e32 v0, 0xffff, v0
	v_add_f64 v[1:2], v[150:151], v[60:61]
	v_add_f64 v[3:4], v[22:23], v[62:63]
	v_add_f64 v[60:61], v[150:151], -v[60:61]
	v_add_f64 v[62:63], v[22:23], -v[62:63]
	;; [unrolled: 1-line block ×6, first 2 shown]
	v_add_f64 v[130:131], v[130:131], v[20:21]
	v_add_f64 v[20:21], v[190:191], -v[20:21]
	v_fma_f64 v[56:57], v[56:57], -0.5, v[126:127]
	v_add_f64 v[22:23], v[22:23], v[88:89]
	v_add_f64 v[88:89], v[90:91], v[150:151]
	;; [unrolled: 1-line block ×3, first 2 shown]
	v_fma_f64 v[90:91], v[130:131], -0.5, v[84:85]
	v_fma_f64 v[18:19], v[114:115], s[14:15], v[128:129]
	v_add_f64 v[130:131], v[174:175], v[20:21]
	s_delay_alu instid0(VALU_DEP_3) | instskip(NEXT) | instid1(VALU_DEP_3)
	v_fma_f64 v[20:21], v[118:119], s[16:17], v[90:91]
	v_fma_f64 v[18:19], v[112:113], s[8:9], v[18:19]
	s_delay_alu instid0(VALU_DEP_2) | instskip(NEXT) | instid1(VALU_DEP_2)
	v_fma_f64 v[20:21], v[116:117], s[2:3], v[20:21]
	v_fma_f64 v[18:19], v[150:151], s[12:13], v[18:19]
	s_delay_alu instid0(VALU_DEP_2) | instskip(NEXT) | instid1(VALU_DEP_2)
	v_fma_f64 v[20:21], v[130:131], s[12:13], v[20:21]
	v_mul_f64 v[84:85], v[18:19], s[14:15]
	s_delay_alu instid0(VALU_DEP_1) | instskip(SKIP_1) | instid1(VALU_DEP_1)
	v_fma_f64 v[84:85], v[20:21], s[12:13], v[84:85]
	v_mul_f64 v[20:21], v[20:21], s[16:17]
	v_fma_f64 v[86:87], v[18:19], s[12:13], v[20:21]
	v_fma_f64 v[18:19], v[122:123], s[16:17], v[33:34]
	v_fma_f64 v[33:34], v[122:123], s[14:15], v[33:34]
	v_fma_f64 v[20:21], v[148:149], s[14:15], v[44:45]
	v_add_f64 v[122:123], v[196:197], -v[204:205]
	s_delay_alu instid0(VALU_DEP_4) | instskip(NEXT) | instid1(VALU_DEP_4)
	v_fma_f64 v[18:19], v[120:121], s[2:3], v[18:19]
	v_fma_f64 v[33:34], v[120:121], s[8:9], v[33:34]
	s_delay_alu instid0(VALU_DEP_4) | instskip(SKIP_1) | instid1(VALU_DEP_4)
	v_fma_f64 v[20:21], v[134:135], s[8:9], v[20:21]
	v_add_f64 v[120:121], v[168:169], -v[14:15]
	v_fma_f64 v[174:175], v[22:23], s[12:13], v[18:19]
	s_delay_alu instid0(VALU_DEP_4)
	v_fma_f64 v[22:23], v[22:23], s[12:13], v[33:34]
	v_fma_f64 v[33:34], v[148:149], s[16:17], v[44:45]
	;; [unrolled: 1-line block ×4, first 2 shown]
	v_add_f64 v[18:19], v[174:175], v[84:85]
	v_add_f64 v[84:85], v[174:175], -v[84:85]
	v_fma_f64 v[33:34], v[134:135], s[2:3], v[33:34]
	v_fma_f64 v[44:45], v[116:117], s[8:9], v[44:45]
	v_add_f64 v[20:21], v[176:177], v[86:87]
	v_add_f64 v[86:87], v[176:177], -v[86:87]
	s_delay_alu instid0(VALU_DEP_4) | instskip(SKIP_2) | instid1(VALU_DEP_2)
	v_fma_f64 v[33:34], v[88:89], s[12:13], v[33:34]
	v_fma_f64 v[88:89], v[114:115], s[16:17], v[128:129]
	v_fma_f64 v[44:45], v[130:131], s[12:13], v[44:45]
	v_fma_f64 v[88:89], v[112:113], s[2:3], v[88:89]
	s_delay_alu instid0(VALU_DEP_2) | instskip(NEXT) | instid1(VALU_DEP_2)
	v_mul_f64 v[90:91], v[44:45], s[18:19]
	v_fma_f64 v[88:89], v[150:151], s[12:13], v[88:89]
	v_add_f64 v[150:151], v[172:173], v[24:25]
	s_delay_alu instid0(VALU_DEP_2) | instskip(SKIP_1) | instid1(VALU_DEP_3)
	v_fma_f64 v[128:129], v[88:89], s[14:15], v[90:91]
	v_mul_f64 v[88:89], v[88:89], s[18:19]
	v_fma_f64 v[150:151], v[150:151], -0.5, v[126:127]
	s_delay_alu instid0(VALU_DEP_2) | instskip(NEXT) | instid1(VALU_DEP_4)
	v_fma_f64 v[44:45], v[44:45], s[16:17], v[88:89]
	v_add_f64 v[88:89], v[22:23], v[128:129]
	v_add_f64 v[128:129], v[22:23], -v[128:129]
	v_fma_f64 v[22:23], v[116:117], s[16:17], v[96:97]
	v_add_f64 v[96:97], v[172:173], -v[24:25]
	v_add_f64 v[116:117], v[198:199], -v[206:207]
	v_add_f64 v[90:91], v[33:34], v[44:45]
	v_add_f64 v[130:131], v[33:34], -v[44:45]
	v_fma_f64 v[33:34], v[134:135], s[14:15], v[35:36]
	v_fma_f64 v[35:36], v[112:113], s[14:15], v[106:107]
	v_fma_f64 v[22:23], v[118:119], s[8:9], v[22:23]
	v_add_f64 v[106:107], v[200:201], -v[212:213]
	v_fma_f64 v[134:135], v[120:121], s[16:17], v[52:53]
	v_fma_f64 v[33:34], v[148:149], s[2:3], v[33:34]
	;; [unrolled: 1-line block ×4, first 2 shown]
	v_add_f64 v[64:65], v[202:203], -v[214:215]
	v_fma_f64 v[134:135], v[122:123], s[8:9], v[134:135]
	v_add_f64 v[148:149], v[200:201], -v[172:173]
	v_fma_f64 v[33:34], v[58:59], s[12:13], v[33:34]
	v_fma_f64 v[35:36], v[66:67], s[12:13], v[35:36]
	v_mul_f64 v[44:45], v[22:23], s[20:21]
	v_add_f64 v[58:59], v[178:179], -v[42:43]
	s_delay_alu instid0(VALU_DEP_2) | instskip(SKIP_1) | instid1(VALU_DEP_3)
	v_fma_f64 v[44:45], v[35:36], s[2:3], v[44:45]
	v_mul_f64 v[35:36], v[35:36], s[20:21]
	v_fma_f64 v[66:67], v[58:59], s[16:17], v[56:57]
	s_delay_alu instid0(VALU_DEP_3) | instskip(NEXT) | instid1(VALU_DEP_3)
	v_add_f64 v[174:175], v[30:31], v[44:45]
	v_fma_f64 v[22:23], v[22:23], s[8:9], v[35:36]
	v_add_f64 v[180:181], v[30:31], -v[44:45]
	v_add_f64 v[30:31], v[14:15], -v[204:205]
	;; [unrolled: 1-line block ×4, first 2 shown]
	v_fma_f64 v[66:67], v[64:65], s[8:9], v[66:67]
	v_add_f64 v[14:15], v[204:205], -v[14:15]
	v_add_f64 v[24:25], v[212:213], -v[24:25]
	v_add_f64 v[176:177], v[33:34], v[22:23]
	v_add_f64 v[182:183], v[33:34], -v[22:23]
	v_add_f64 v[22:23], v[168:169], -v[196:197]
	;; [unrolled: 1-line block ×3, first 2 shown]
	ds_store_b128 v79, v[26:29]
	ds_store_b128 v79, v[10:13] offset:8000
	ds_store_b128 v79, v[1:4] offset:1600
	;; [unrolled: 1-line block ×9, first 2 shown]
	v_add_f64 v[24:25], v[148:149], v[24:25]
	v_dual_mov_b32 v87, v51 :: v_dual_lshlrev_b32 v84, 4, v0
	v_add_f64 v[22:23], v[22:23], v[30:31]
	v_add_f64 v[30:31], v[170:171], -v[198:199]
	s_delay_alu instid0(VALU_DEP_1) | instskip(SKIP_1) | instid1(VALU_DEP_2)
	v_add_f64 v[30:31], v[30:31], v[33:34]
	v_add_f64 v[33:34], v[178:179], -v[202:203]
	v_fma_f64 v[134:135], v[30:31], s[12:13], v[134:135]
	s_delay_alu instid0(VALU_DEP_2) | instskip(SKIP_1) | instid1(VALU_DEP_1)
	v_add_f64 v[33:34], v[33:34], v[35:36]
	v_add_f64 v[35:36], v[172:173], -v[200:201]
	v_add_f64 v[35:36], v[35:36], v[44:45]
	v_add_f64 v[44:45], v[202:203], v[214:215]
	s_delay_alu instid0(VALU_DEP_2) | instskip(NEXT) | instid1(VALU_DEP_2)
	v_fma_f64 v[66:67], v[35:36], s[12:13], v[66:67]
	v_fma_f64 v[44:45], v[44:45], -0.5, v[124:125]
	s_delay_alu instid0(VALU_DEP_2) | instskip(NEXT) | instid1(VALU_DEP_2)
	v_mul_f64 v[114:115], v[66:67], s[2:3]
	v_fma_f64 v[112:113], v[96:97], s[14:15], v[44:45]
	s_delay_alu instid0(VALU_DEP_1) | instskip(NEXT) | instid1(VALU_DEP_1)
	v_fma_f64 v[112:113], v[106:107], s[2:3], v[112:113]
	v_fma_f64 v[112:113], v[33:34], s[12:13], v[112:113]
	s_delay_alu instid0(VALU_DEP_1) | instskip(SKIP_1) | instid1(VALU_DEP_1)
	v_fma_f64 v[114:115], v[112:113], s[22:23], v[114:115]
	v_mul_f64 v[112:113], v[112:113], s[8:9]
	v_fma_f64 v[66:67], v[66:67], s[22:23], v[112:113]
	v_add_f64 v[112:113], v[170:171], -v[16:17]
	v_add_f64 v[16:17], v[206:207], -v[16:17]
	s_delay_alu instid0(VALU_DEP_3) | instskip(NEXT) | instid1(VALU_DEP_3)
	v_add_f64 v[186:187], v[134:135], v[66:67]
	v_fma_f64 v[118:119], v[112:113], s[14:15], v[46:47]
	v_add_f64 v[190:191], v[134:135], -v[66:67]
	v_add_f64 v[66:67], v[196:197], -v[168:169]
	v_add_f64 v[134:135], v[178:179], v[42:43]
	v_add_f64 v[41:42], v[214:215], -v[42:43]
	v_fma_f64 v[118:119], v[116:117], s[2:3], v[118:119]
	s_delay_alu instid0(VALU_DEP_4) | instskip(NEXT) | instid1(VALU_DEP_4)
	v_add_f64 v[66:67], v[66:67], v[14:15]
	v_fma_f64 v[134:135], v[134:135], -0.5, v[124:125]
	v_fma_f64 v[14:15], v[64:65], s[14:15], v[150:151]
	s_delay_alu instid0(VALU_DEP_4) | instskip(NEXT) | instid1(VALU_DEP_2)
	v_fma_f64 v[118:119], v[22:23], s[12:13], v[118:119]
	v_fma_f64 v[14:15], v[58:59], s[8:9], v[14:15]
	s_delay_alu instid0(VALU_DEP_2) | instskip(SKIP_4) | instid1(VALU_DEP_3)
	v_add_f64 v[184:185], v[118:119], v[114:115]
	v_add_f64 v[188:189], v[118:119], -v[114:115]
	v_add_f64 v[114:115], v[198:199], -v[170:171]
	v_add_f64 v[118:119], v[202:203], -v[178:179]
	v_fma_f64 v[14:15], v[24:25], s[12:13], v[14:15]
	v_add_f64 v[114:115], v[114:115], v[16:17]
	v_fma_f64 v[16:17], v[106:107], s[16:17], v[134:135]
	s_delay_alu instid0(VALU_DEP_4) | instskip(NEXT) | instid1(VALU_DEP_4)
	v_add_f64 v[41:42], v[118:119], v[41:42]
	v_mul_f64 v[118:119], v[14:15], s[14:15]
	s_delay_alu instid0(VALU_DEP_3) | instskip(NEXT) | instid1(VALU_DEP_1)
	v_fma_f64 v[16:17], v[96:97], s[2:3], v[16:17]
	v_fma_f64 v[16:17], v[41:42], s[12:13], v[16:17]
	s_delay_alu instid0(VALU_DEP_1) | instskip(SKIP_1) | instid1(VALU_DEP_1)
	v_fma_f64 v[118:119], v[16:17], s[12:13], v[118:119]
	v_mul_f64 v[16:17], v[16:17], s[16:17]
	v_fma_f64 v[126:127], v[14:15], s[12:13], v[16:17]
	v_fma_f64 v[14:15], v[116:117], s[16:17], v[48:49]
	;; [unrolled: 1-line block ×5, first 2 shown]
	s_delay_alu instid0(VALU_DEP_4) | instskip(NEXT) | instid1(VALU_DEP_4)
	v_fma_f64 v[14:15], v[112:113], s[2:3], v[14:15]
	v_fma_f64 v[48:49], v[112:113], s[8:9], v[48:49]
	s_delay_alu instid0(VALU_DEP_4) | instskip(NEXT) | instid1(VALU_DEP_4)
	v_fma_f64 v[16:17], v[120:121], s[8:9], v[16:17]
	v_fma_f64 v[54:55], v[120:121], s[2:3], v[54:55]
	;; [unrolled: 3-line block ×3, first 2 shown]
	v_fma_f64 v[66:67], v[106:107], s[14:15], v[134:135]
	s_delay_alu instid0(VALU_DEP_4) | instskip(SKIP_4) | instid1(VALU_DEP_4)
	v_fma_f64 v[54:55], v[114:115], s[12:13], v[54:55]
	v_fma_f64 v[148:149], v[114:115], s[12:13], v[16:17]
	v_add_f64 v[14:15], v[124:125], v[118:119]
	v_add_f64 v[124:125], v[124:125], -v[118:119]
	v_fma_f64 v[66:67], v[96:97], s[8:9], v[66:67]
	v_add_f64 v[16:17], v[148:149], v[126:127]
	v_add_f64 v[126:127], v[148:149], -v[126:127]
	s_delay_alu instid0(VALU_DEP_3) | instskip(SKIP_1) | instid1(VALU_DEP_1)
	v_fma_f64 v[41:42], v[41:42], s[12:13], v[66:67]
	v_fma_f64 v[66:67], v[64:65], s[16:17], v[150:151]
	;; [unrolled: 1-line block ×3, first 2 shown]
	s_delay_alu instid0(VALU_DEP_1) | instskip(NEXT) | instid1(VALU_DEP_4)
	v_fma_f64 v[24:25], v[24:25], s[12:13], v[66:67]
	v_mul_f64 v[66:67], v[41:42], s[18:19]
	s_delay_alu instid0(VALU_DEP_1) | instskip(SKIP_1) | instid1(VALU_DEP_2)
	v_fma_f64 v[66:67], v[24:25], s[14:15], v[66:67]
	v_mul_f64 v[24:25], v[24:25], s[18:19]
	v_add_f64 v[168:169], v[48:49], v[66:67]
	s_delay_alu instid0(VALU_DEP_2) | instskip(SKIP_2) | instid1(VALU_DEP_3)
	v_fma_f64 v[24:25], v[41:42], s[16:17], v[24:25]
	v_fma_f64 v[41:42], v[112:113], s[16:17], v[46:47]
	v_add_f64 v[192:193], v[48:49], -v[66:67]
	v_add_f64 v[170:171], v[54:55], v[24:25]
	v_add_f64 v[194:195], v[54:55], -v[24:25]
	v_fma_f64 v[24:25], v[96:97], s[16:17], v[44:45]
	v_fma_f64 v[45:46], v[58:59], s[14:15], v[56:57]
	;; [unrolled: 1-line block ×4, first 2 shown]
	s_delay_alu instid0(VALU_DEP_4) | instskip(NEXT) | instid1(VALU_DEP_4)
	v_fma_f64 v[24:25], v[106:107], s[8:9], v[24:25]
	v_fma_f64 v[45:46], v[64:65], s[2:3], v[45:46]
	s_delay_alu instid0(VALU_DEP_4) | instskip(NEXT) | instid1(VALU_DEP_4)
	v_fma_f64 v[43:44], v[122:123], s[2:3], v[43:44]
	v_fma_f64 v[22:23], v[22:23], s[12:13], v[41:42]
	;; [unrolled: 3-line block ×3, first 2 shown]
	s_delay_alu instid0(VALU_DEP_4) | instskip(NEXT) | instid1(VALU_DEP_3)
	v_fma_f64 v[30:31], v[30:31], s[12:13], v[43:44]
	v_mul_f64 v[35:36], v[24:25], s[20:21]
	s_delay_alu instid0(VALU_DEP_1) | instskip(SKIP_1) | instid1(VALU_DEP_2)
	v_fma_f64 v[35:36], v[33:34], s[2:3], v[35:36]
	v_mul_f64 v[33:34], v[33:34], s[20:21]
	v_add_f64 v[196:197], v[22:23], v[35:36]
	s_delay_alu instid0(VALU_DEP_2) | instskip(SKIP_1) | instid1(VALU_DEP_2)
	v_fma_f64 v[24:25], v[24:25], s[8:9], v[33:34]
	v_add_f64 v[200:201], v[22:23], -v[35:36]
	v_add_f64 v[198:199], v[30:31], v[24:25]
	v_add_f64 v[202:203], v[30:31], -v[24:25]
	ds_store_b128 v84, v[37:40]
	ds_store_b128 v84, v[184:187] offset:1600
	ds_store_b128 v84, v[14:17] offset:3200
	;; [unrolled: 1-line block ×9, first 2 shown]
	v_mad_u64_u32 v[14:15], null, v51, 48, s[10:11]
	s_waitcnt lgkmcnt(0)
	s_barrier
	buffer_gl0_inv
	v_add_co_u32 v0, vcc_lo, 0x3000, v14
	v_add_co_ci_u32_e32 v1, vcc_lo, 0, v15, vcc_lo
	global_load_b128 v[204:207], v[0:1], off offset:3552
	ds_load_b128 v[1:4], v143 offset:16000
	s_waitcnt vmcnt(0) lgkmcnt(0)
	v_mul_f64 v[5:6], v[3:4], v[206:207]
	s_delay_alu instid0(VALU_DEP_1) | instskip(SKIP_1) | instid1(VALU_DEP_1)
	v_fma_f64 v[8:9], v[1:2], v[204:205], -v[5:6]
	v_mul_f64 v[0:1], v[1:2], v[206:207]
	v_fma_f64 v[2:3], v[3:4], v[204:205], v[0:1]
	v_add_co_u32 v0, vcc_lo, 0x3de0, v14
	v_add_co_ci_u32_e32 v1, vcc_lo, 0, v15, vcc_lo
	ds_load_b128 v[4:7], v143 offset:32000
	global_load_b128 v[212:215], v[0:1], off offset:16
	s_waitcnt vmcnt(0) lgkmcnt(0)
	v_mul_f64 v[10:11], v[6:7], v[214:215]
	s_delay_alu instid0(VALU_DEP_1) | instskip(SKIP_2) | instid1(VALU_DEP_1)
	v_fma_f64 v[16:17], v[4:5], v[212:213], -v[10:11]
	global_load_b128 v[10:13], v[0:1], off offset:32
	v_mul_f64 v[4:5], v[4:5], v[214:215]
	v_fma_f64 v[18:19], v[6:7], v[212:213], v[4:5]
	ds_load_b128 v[4:7], v143 offset:48000
	s_waitcnt vmcnt(0) lgkmcnt(0)
	v_mul_f64 v[0:1], v[6:7], v[12:13]
	scratch_store_b128 off, v[10:13], off offset:504 ; 16-byte Folded Spill
	v_fma_f64 v[0:1], v[4:5], v[10:11], -v[0:1]
	v_mul_f64 v[4:5], v[4:5], v[12:13]
	s_delay_alu instid0(VALU_DEP_2) | instskip(NEXT) | instid1(VALU_DEP_2)
	v_add_f64 v[0:1], v[8:9], -v[0:1]
	v_fma_f64 v[20:21], v[6:7], v[10:11], v[4:5]
	v_add_co_u32 v4, vcc_lo, 0x6000, v14
	v_add_co_ci_u32_e32 v5, vcc_lo, 0, v15, vcc_lo
	v_add_co_u32 v22, vcc_lo, 0x6360, v14
	v_add_co_ci_u32_e32 v23, vcc_lo, 0, v15, vcc_lo
	global_load_b128 v[88:91], v[4:5], off offset:864
	ds_load_b128 v[10:13], v143 offset:19200
	s_clause 0x1
	global_load_b128 v[124:127], v[22:23], off offset:16
	global_load_b128 v[128:131], v[22:23], off offset:32
	v_add_f64 v[114:115], v[2:3], -v[20:21]
	s_waitcnt vmcnt(2) lgkmcnt(0)
	v_mul_f64 v[4:5], v[12:13], v[90:91]
	v_mul_f64 v[6:7], v[10:11], v[90:91]
	s_delay_alu instid0(VALU_DEP_2) | instskip(NEXT) | instid1(VALU_DEP_2)
	v_fma_f64 v[4:5], v[10:11], v[88:89], -v[4:5]
	v_fma_f64 v[6:7], v[12:13], v[88:89], v[6:7]
	ds_load_b128 v[10:13], v143 offset:35200
	s_waitcnt vmcnt(1) lgkmcnt(0)
	v_mul_f64 v[24:25], v[12:13], v[126:127]
	s_delay_alu instid0(VALU_DEP_1) | instskip(SKIP_1) | instid1(VALU_DEP_1)
	v_fma_f64 v[24:25], v[10:11], v[124:125], -v[24:25]
	v_mul_f64 v[10:11], v[10:11], v[126:127]
	v_fma_f64 v[26:27], v[12:13], v[124:125], v[10:11]
	ds_load_b128 v[10:13], v143 offset:51200
	s_waitcnt vmcnt(0) lgkmcnt(0)
	v_mul_f64 v[22:23], v[12:13], v[130:131]
	s_delay_alu instid0(VALU_DEP_1) | instskip(SKIP_1) | instid1(VALU_DEP_2)
	v_fma_f64 v[22:23], v[10:11], v[128:129], -v[22:23]
	v_mul_f64 v[10:11], v[10:11], v[130:131]
	v_add_f64 v[122:123], v[4:5], -v[22:23]
	s_delay_alu instid0(VALU_DEP_2)
	v_fma_f64 v[28:29], v[12:13], v[128:129], v[10:11]
	v_add_co_u32 v10, vcc_lo, 0x8000, v14
	v_add_co_ci_u32_e32 v11, vcc_lo, 0, v15, vcc_lo
	v_add_co_u32 v34, vcc_lo, 0x88e0, v14
	v_add_co_ci_u32_e32 v35, vcc_lo, 0, v15, vcc_lo
	global_load_b128 v[168:171], v[10:11], off offset:2272
	ds_load_b128 v[10:13], v143 offset:22400
	s_clause 0x1
	global_load_b128 v[172:175], v[34:35], off offset:16
	global_load_b128 v[176:179], v[34:35], off offset:32
	v_fma_f64 v[4:5], v[4:5], 2.0, -v[122:123]
	v_add_f64 v[120:121], v[6:7], -v[28:29]
	s_delay_alu instid0(VALU_DEP_1) | instskip(SKIP_2) | instid1(VALU_DEP_1)
	v_fma_f64 v[6:7], v[6:7], 2.0, -v[120:121]
	s_waitcnt vmcnt(2) lgkmcnt(0)
	v_mul_f64 v[30:31], v[12:13], v[170:171]
	v_fma_f64 v[30:31], v[10:11], v[168:169], -v[30:31]
	v_mul_f64 v[10:11], v[10:11], v[170:171]
	s_delay_alu instid0(VALU_DEP_1) | instskip(SKIP_3) | instid1(VALU_DEP_1)
	v_fma_f64 v[32:33], v[12:13], v[168:169], v[10:11]
	ds_load_b128 v[10:13], v143 offset:38400
	s_waitcnt vmcnt(1) lgkmcnt(0)
	v_mul_f64 v[36:37], v[12:13], v[174:175]
	v_fma_f64 v[36:37], v[10:11], v[172:173], -v[36:37]
	v_mul_f64 v[10:11], v[10:11], v[174:175]
	s_delay_alu instid0(VALU_DEP_1) | instskip(SKIP_3) | instid1(VALU_DEP_1)
	v_fma_f64 v[38:39], v[12:13], v[172:173], v[10:11]
	ds_load_b128 v[10:13], v143 offset:54400
	s_waitcnt vmcnt(0) lgkmcnt(0)
	v_mul_f64 v[34:35], v[12:13], v[178:179]
	v_fma_f64 v[34:35], v[10:11], v[176:177], -v[34:35]
	v_mul_f64 v[10:11], v[10:11], v[178:179]
	s_delay_alu instid0(VALU_DEP_2) | instskip(NEXT) | instid1(VALU_DEP_2)
	v_add_f64 v[34:35], v[30:31], -v[34:35]
	v_fma_f64 v[40:41], v[12:13], v[176:177], v[10:11]
	v_add_co_u32 v10, vcc_lo, 0xa000, v14
	v_add_co_ci_u32_e32 v11, vcc_lo, 0, v15, vcc_lo
	v_add_co_u32 v46, vcc_lo, 0xae60, v14
	v_add_co_ci_u32_e32 v47, vcc_lo, 0, v15, vcc_lo
	global_load_b128 v[180:183], v[10:11], off offset:3680
	ds_load_b128 v[10:13], v143 offset:25600
	s_clause 0x1
	global_load_b128 v[184:187], v[46:47], off offset:16
	global_load_b128 v[188:191], v[46:47], off offset:32
	v_add_f64 v[150:151], v[32:33], -v[40:41]
	s_waitcnt vmcnt(2) lgkmcnt(0)
	v_mul_f64 v[42:43], v[12:13], v[182:183]
	s_delay_alu instid0(VALU_DEP_1) | instskip(SKIP_1) | instid1(VALU_DEP_1)
	v_fma_f64 v[42:43], v[10:11], v[180:181], -v[42:43]
	v_mul_f64 v[10:11], v[10:11], v[182:183]
	v_fma_f64 v[44:45], v[12:13], v[180:181], v[10:11]
	ds_load_b128 v[10:13], v143 offset:41600
	s_waitcnt vmcnt(1) lgkmcnt(0)
	v_mul_f64 v[52:53], v[12:13], v[186:187]
	s_delay_alu instid0(VALU_DEP_1) | instskip(SKIP_1) | instid1(VALU_DEP_1)
	v_fma_f64 v[52:53], v[10:11], v[184:185], -v[52:53]
	v_mul_f64 v[10:11], v[10:11], v[186:187]
	v_fma_f64 v[54:55], v[12:13], v[184:185], v[10:11]
	ds_load_b128 v[10:13], v143 offset:57600
	s_waitcnt vmcnt(0) lgkmcnt(0)
	v_mul_f64 v[46:47], v[12:13], v[190:191]
	s_delay_alu instid0(VALU_DEP_1) | instskip(SKIP_1) | instid1(VALU_DEP_2)
	v_fma_f64 v[46:47], v[10:11], v[188:189], -v[46:47]
	v_mul_f64 v[10:11], v[10:11], v[190:191]
	v_add_f64 v[46:47], v[42:43], -v[46:47]
	s_delay_alu instid0(VALU_DEP_2)
	v_fma_f64 v[56:57], v[12:13], v[188:189], v[10:11]
	v_add_co_u32 v10, vcc_lo, 0xd000, v14
	v_add_co_ci_u32_e32 v11, vcc_lo, 0, v15, vcc_lo
	v_add_co_u32 v14, vcc_lo, 0xd3e0, v14
	v_add_co_ci_u32_e32 v15, vcc_lo, 0, v15, vcc_lo
	global_load_b128 v[192:195], v[10:11], off offset:992
	ds_load_b128 v[10:13], v143 offset:28800
	s_clause 0x1
	global_load_b128 v[196:199], v[14:15], off offset:16
	global_load_b128 v[200:203], v[14:15], off offset:32
	v_add_f64 v[56:57], v[44:45], -v[56:57]
	s_waitcnt vmcnt(2) lgkmcnt(0)
	v_mul_f64 v[58:59], v[12:13], v[194:195]
	s_delay_alu instid0(VALU_DEP_1) | instskip(SKIP_1) | instid1(VALU_DEP_1)
	v_fma_f64 v[58:59], v[10:11], v[192:193], -v[58:59]
	v_mul_f64 v[10:11], v[10:11], v[194:195]
	v_fma_f64 v[60:61], v[12:13], v[192:193], v[10:11]
	ds_load_b128 v[10:13], v143 offset:44800
	s_waitcnt vmcnt(1) lgkmcnt(0)
	v_mul_f64 v[62:63], v[12:13], v[198:199]
	s_delay_alu instid0(VALU_DEP_1) | instskip(SKIP_1) | instid1(VALU_DEP_1)
	v_fma_f64 v[62:63], v[10:11], v[196:197], -v[62:63]
	v_mul_f64 v[10:11], v[10:11], v[198:199]
	v_fma_f64 v[64:65], v[12:13], v[196:197], v[10:11]
	ds_load_b128 v[10:13], v143 offset:60800
	s_waitcnt vmcnt(0) lgkmcnt(0)
	v_mul_f64 v[14:15], v[12:13], v[202:203]
	s_delay_alu instid0(VALU_DEP_1) | instskip(SKIP_1) | instid1(VALU_DEP_2)
	v_fma_f64 v[66:67], v[10:11], v[200:201], -v[14:15]
	v_mul_f64 v[10:11], v[10:11], v[202:203]
	v_add_f64 v[66:67], v[58:59], -v[66:67]
	s_delay_alu instid0(VALU_DEP_2)
	v_fma_f64 v[96:97], v[12:13], v[200:201], v[10:11]
	ds_load_b128 v[10:13], v143
	s_waitcnt lgkmcnt(0)
	v_add_f64 v[14:15], v[10:11], -v[16:17]
	v_add_f64 v[16:17], v[12:13], -v[18:19]
	;; [unrolled: 1-line block ×3, first 2 shown]
	s_delay_alu instid0(VALU_DEP_3) | instskip(NEXT) | instid1(VALU_DEP_3)
	v_fma_f64 v[106:107], v[10:11], 2.0, -v[14:15]
	v_fma_f64 v[112:113], v[12:13], 2.0, -v[16:17]
	v_add_f64 v[10:11], v[14:15], -v[114:115]
	v_add_f64 v[12:13], v[16:17], v[0:1]
	v_fma_f64 v[0:1], v[8:9], 2.0, -v[0:1]
	s_delay_alu instid0(VALU_DEP_3) | instskip(NEXT) | instid1(VALU_DEP_3)
	v_fma_f64 v[14:15], v[14:15], 2.0, -v[10:11]
	v_fma_f64 v[16:17], v[16:17], 2.0, -v[12:13]
	ds_store_b128 v143, v[10:13] offset:48000
	ds_load_b128 v[10:13], v143 offset:3200
	s_waitcnt lgkmcnt(0)
	v_add_f64 v[18:19], v[10:11], -v[24:25]
	v_add_f64 v[20:21], v[12:13], -v[26:27]
	s_delay_alu instid0(VALU_DEP_2) | instskip(NEXT) | instid1(VALU_DEP_2)
	v_fma_f64 v[116:117], v[10:11], 2.0, -v[18:19]
	v_fma_f64 v[118:119], v[12:13], 2.0, -v[20:21]
	v_add_f64 v[10:11], v[18:19], -v[120:121]
	v_add_f64 v[12:13], v[20:21], v[122:123]
	s_delay_alu instid0(VALU_DEP_4) | instskip(NEXT) | instid1(VALU_DEP_4)
	v_add_f64 v[4:5], v[116:117], -v[4:5]
	v_add_f64 v[6:7], v[118:119], -v[6:7]
	s_delay_alu instid0(VALU_DEP_4) | instskip(NEXT) | instid1(VALU_DEP_4)
	v_fma_f64 v[18:19], v[18:19], 2.0, -v[10:11]
	v_fma_f64 v[20:21], v[20:21], 2.0, -v[12:13]
	ds_store_b128 v143, v[10:13] offset:51200
	ds_load_b128 v[10:13], v143 offset:6400
	s_waitcnt lgkmcnt(0)
	v_add_f64 v[22:23], v[10:11], -v[36:37]
	v_add_f64 v[24:25], v[12:13], -v[38:39]
	s_delay_alu instid0(VALU_DEP_2) | instskip(NEXT) | instid1(VALU_DEP_2)
	v_fma_f64 v[134:135], v[10:11], 2.0, -v[22:23]
	v_fma_f64 v[148:149], v[12:13], 2.0, -v[24:25]
	v_add_f64 v[10:11], v[22:23], -v[150:151]
	v_add_f64 v[12:13], v[24:25], v[34:35]
	s_delay_alu instid0(VALU_DEP_2) | instskip(NEXT) | instid1(VALU_DEP_2)
	v_fma_f64 v[22:23], v[22:23], 2.0, -v[10:11]
	v_fma_f64 v[24:25], v[24:25], 2.0, -v[12:13]
	ds_store_b128 v143, v[10:13] offset:54400
	ds_load_b128 v[10:13], v143 offset:9600
	s_waitcnt lgkmcnt(0)
	v_add_f64 v[26:27], v[10:11], -v[52:53]
	v_add_f64 v[28:29], v[12:13], -v[54:55]
	s_delay_alu instid0(VALU_DEP_2) | instskip(NEXT) | instid1(VALU_DEP_2)
	v_fma_f64 v[52:53], v[10:11], 2.0, -v[26:27]
	v_fma_f64 v[54:55], v[12:13], 2.0, -v[28:29]
	v_add_f64 v[10:11], v[26:27], -v[56:57]
	v_add_f64 v[12:13], v[28:29], v[46:47]
	s_delay_alu instid0(VALU_DEP_2) | instskip(NEXT) | instid1(VALU_DEP_2)
	v_fma_f64 v[26:27], v[26:27], 2.0, -v[10:11]
	v_fma_f64 v[28:29], v[28:29], 2.0, -v[12:13]
	ds_store_b128 v143, v[10:13] offset:57600
	ds_load_b128 v[10:13], v143 offset:12800
	s_waitcnt lgkmcnt(0)
	v_add_f64 v[36:37], v[10:11], -v[62:63]
	v_add_f64 v[39:40], v[12:13], -v[64:65]
	s_delay_alu instid0(VALU_DEP_2) | instskip(NEXT) | instid1(VALU_DEP_2)
	v_fma_f64 v[62:63], v[10:11], 2.0, -v[36:37]
	v_fma_f64 v[64:65], v[12:13], 2.0, -v[39:40]
	v_add_f64 v[10:11], v[36:37], -v[96:97]
	v_add_f64 v[12:13], v[39:40], v[66:67]
	ds_store_b128 v143, v[10:13] offset:60800
	ds_store_b128 v143, v[14:17] offset:16000
	;; [unrolled: 1-line block ×3, first 2 shown]
	v_fma_f64 v[37:38], v[36:37], 2.0, -v[10:11]
	v_fma_f64 v[39:40], v[39:40], 2.0, -v[12:13]
	;; [unrolled: 1-line block ×4, first 2 shown]
	ds_store_b128 v143, v[4:7] offset:35200
	v_fma_f64 v[4:5], v[30:31], 2.0, -v[34:35]
	v_fma_f64 v[6:7], v[32:33], 2.0, -v[150:151]
	s_delay_alu instid0(VALU_DEP_2) | instskip(NEXT) | instid1(VALU_DEP_2)
	v_add_f64 v[4:5], v[134:135], -v[4:5]
	v_add_f64 v[6:7], v[148:149], -v[6:7]
	ds_store_b128 v143, v[4:7] offset:38400
	ds_store_b128 v143, v[22:25] offset:22400
	;; [unrolled: 1-line block ×3, first 2 shown]
	v_fma_f64 v[14:15], v[134:135], 2.0, -v[4:5]
	v_fma_f64 v[3:4], v[2:3], 2.0, -v[114:115]
	v_add_f64 v[1:2], v[106:107], -v[0:1]
	v_fma_f64 v[16:17], v[148:149], 2.0, -v[6:7]
	s_delay_alu instid0(VALU_DEP_3) | instskip(NEXT) | instid1(VALU_DEP_3)
	v_add_f64 v[3:4], v[112:113], -v[3:4]
	v_fma_f64 v[5:6], v[106:107], 2.0, -v[1:2]
	ds_store_b128 v143, v[1:4] offset:32000
	ds_store_b128 v143, v[37:40] offset:28800
	v_fma_f64 v[7:8], v[112:113], 2.0, -v[3:4]
	v_fma_f64 v[0:1], v[42:43], 2.0, -v[46:47]
	;; [unrolled: 1-line block ×3, first 2 shown]
	s_delay_alu instid0(VALU_DEP_2) | instskip(NEXT) | instid1(VALU_DEP_2)
	v_add_f64 v[1:2], v[52:53], -v[0:1]
	v_add_f64 v[3:4], v[54:55], -v[3:4]
	s_delay_alu instid0(VALU_DEP_2) | instskip(NEXT) | instid1(VALU_DEP_2)
	v_fma_f64 v[18:19], v[52:53], 2.0, -v[1:2]
	v_fma_f64 v[20:21], v[54:55], 2.0, -v[3:4]
	ds_store_b128 v143, v[1:4] offset:41600
	v_fma_f64 v[0:1], v[58:59], 2.0, -v[66:67]
	v_fma_f64 v[3:4], v[60:61], 2.0, -v[96:97]
	s_delay_alu instid0(VALU_DEP_2) | instskip(NEXT) | instid1(VALU_DEP_2)
	v_add_f64 v[1:2], v[62:63], -v[0:1]
	v_add_f64 v[3:4], v[64:65], -v[3:4]
	v_add_co_u32 v0, vcc_lo, 0xf000, v132
	s_delay_alu instid0(VALU_DEP_3) | instskip(NEXT) | instid1(VALU_DEP_3)
	v_fma_f64 v[22:23], v[62:63], 2.0, -v[1:2]
	v_fma_f64 v[24:25], v[64:65], 2.0, -v[3:4]
	ds_store_b128 v143, v[1:4] offset:44800
	ds_store_b128 v143, v[10:13] offset:3200
	;; [unrolled: 1-line block ×5, first 2 shown]
	ds_store_b128 v143, v[5:8]
	v_add_co_ci_u32_e32 v1, vcc_lo, 0, v133, vcc_lo
	s_waitcnt lgkmcnt(0)
	s_waitcnt_vscnt null, 0x0
	s_barrier
	buffer_gl0_inv
	global_load_b128 v[1:4], v[0:1], off offset:2560
	ds_load_b128 v[5:8], v143
	ds_load_b128 v[33:36], v143 offset:57600
	v_add_co_u32 v56, vcc_lo, 0x11000, v132
	v_add_co_ci_u32_e32 v57, vcc_lo, 0, v133, vcc_lo
	ds_load_b128 v[11:14], v143 offset:6400
	ds_load_b128 v[120:123], v143 offset:3200
	;; [unrolled: 1-line block ×10, first 2 shown]
	s_waitcnt vmcnt(0) lgkmcnt(11)
	v_mul_f64 v[9:10], v[7:8], v[3:4]
	v_mul_f64 v[3:4], v[5:6], v[3:4]
	s_delay_alu instid0(VALU_DEP_2) | instskip(NEXT) | instid1(VALU_DEP_2)
	v_fma_f64 v[64:65], v[5:6], v[1:2], -v[9:10]
	v_fma_f64 v[66:67], v[7:8], v[1:2], v[3:4]
	global_load_b128 v[7:10], v[56:57], off offset:768
	s_waitcnt vmcnt(0) lgkmcnt(9)
	v_mul_f64 v[0:1], v[13:14], v[9:10]
	v_mul_f64 v[2:3], v[11:12], v[9:10]
	s_delay_alu instid0(VALU_DEP_2) | instskip(SKIP_2) | instid1(VALU_DEP_4)
	v_fma_f64 v[45:46], v[11:12], v[7:8], -v[0:1]
	v_add_co_u32 v0, vcc_lo, 0x12000, v132
	v_add_co_ci_u32_e32 v1, vcc_lo, 0, v133, vcc_lo
	v_fma_f64 v[47:48], v[13:14], v[7:8], v[2:3]
	global_load_b128 v[13:16], v[0:1], off offset:3072
	s_waitcnt vmcnt(0) lgkmcnt(7)
	v_mul_f64 v[0:1], v[19:20], v[15:16]
	v_mul_f64 v[2:3], v[17:18], v[15:16]
	s_delay_alu instid0(VALU_DEP_2) | instskip(SKIP_2) | instid1(VALU_DEP_4)
	v_fma_f64 v[41:42], v[17:18], v[13:14], -v[0:1]
	v_add_co_u32 v0, vcc_lo, 0x14000, v132
	v_add_co_ci_u32_e32 v1, vcc_lo, 0, v133, vcc_lo
	v_fma_f64 v[43:44], v[19:20], v[13:14], v[2:3]
	v_add_co_u32 v8, vcc_lo, 0x15000, v132
	global_load_b128 v[19:22], v[0:1], off offset:1280
	v_add_co_ci_u32_e32 v9, vcc_lo, 0, v133, vcc_lo
	s_waitcnt vmcnt(0) lgkmcnt(6)
	v_mul_f64 v[2:3], v[23:24], v[21:22]
	v_mul_f64 v[0:1], v[25:26], v[21:22]
	s_delay_alu instid0(VALU_DEP_2)
	v_fma_f64 v[31:32], v[25:26], v[19:20], v[2:3]
	global_load_b128 v[25:28], v[8:9], off offset:3584
	v_fma_f64 v[29:30], v[23:24], v[19:20], -v[0:1]
	ds_load_b128 v[16:19], v143 offset:48000
	s_waitcnt vmcnt(0) lgkmcnt(6)
	v_mul_f64 v[0:1], v[39:40], v[27:28]
	v_mul_f64 v[2:3], v[37:38], v[27:28]
	s_delay_alu instid0(VALU_DEP_2) | instskip(SKIP_2) | instid1(VALU_DEP_4)
	v_fma_f64 v[37:38], v[37:38], v[25:26], -v[0:1]
	v_add_co_u32 v0, vcc_lo, 0x17000, v132
	v_add_co_ci_u32_e32 v1, vcc_lo, 0, v133, vcc_lo
	v_fma_f64 v[39:40], v[39:40], v[25:26], v[2:3]
	v_add_co_u32 v10, vcc_lo, 0x19000, v132
	global_load_b128 v[25:28], v[0:1], off offset:1792
	v_add_co_ci_u32_e32 v11, vcc_lo, 0, v133, vcc_lo
	s_waitcnt vmcnt(0) lgkmcnt(4)
	v_mul_f64 v[0:1], v[62:63], v[27:28]
	v_mul_f64 v[2:3], v[60:61], v[27:28]
	s_delay_alu instid0(VALU_DEP_2) | instskip(NEXT) | instid1(VALU_DEP_2)
	v_fma_f64 v[60:61], v[60:61], v[25:26], -v[0:1]
	v_fma_f64 v[62:63], v[62:63], v[25:26], v[2:3]
	global_load_b128 v[25:28], v[10:11], off
	ds_load_b128 v[0:3], v143 offset:38400
	s_waitcnt vmcnt(0) lgkmcnt(0)
	v_mul_f64 v[4:5], v[2:3], v[27:28]
	v_mul_f64 v[6:7], v[0:1], v[27:28]
	s_delay_alu instid0(VALU_DEP_2) | instskip(SKIP_2) | instid1(VALU_DEP_4)
	v_fma_f64 v[20:21], v[0:1], v[25:26], -v[4:5]
	v_add_co_u32 v0, vcc_lo, 0x1a000, v132
	v_add_co_ci_u32_e32 v1, vcc_lo, 0, v133, vcc_lo
	v_fma_f64 v[22:23], v[2:3], v[25:26], v[6:7]
	ds_load_b128 v[25:28], v143 offset:44800
	v_add_co_u32 v96, vcc_lo, 0x1c000, v132
	global_load_b128 v[4:7], v[0:1], off offset:2304
	v_add_co_ci_u32_e32 v97, vcc_lo, 0, v133, vcc_lo
	s_waitcnt vmcnt(0) lgkmcnt(0)
	v_mul_f64 v[0:1], v[27:28], v[6:7]
	v_mul_f64 v[2:3], v[25:26], v[6:7]
	s_delay_alu instid0(VALU_DEP_2) | instskip(NEXT) | instid1(VALU_DEP_2)
	v_fma_f64 v[25:26], v[25:26], v[4:5], -v[0:1]
	v_fma_f64 v[27:28], v[27:28], v[4:5], v[2:3]
	global_load_b128 v[4:7], v[96:97], off offset:512
	s_waitcnt vmcnt(0)
	v_mul_f64 v[0:1], v[54:55], v[6:7]
	v_mul_f64 v[2:3], v[52:53], v[6:7]
	s_delay_alu instid0(VALU_DEP_2) | instskip(SKIP_2) | instid1(VALU_DEP_4)
	v_fma_f64 v[52:53], v[52:53], v[4:5], -v[0:1]
	v_add_co_u32 v0, vcc_lo, 0x1d000, v132
	v_add_co_ci_u32_e32 v1, vcc_lo, 0, v133, vcc_lo
	v_fma_f64 v[54:55], v[54:55], v[4:5], v[2:3]
	global_load_b128 v[4:7], v[0:1], off offset:2816
	s_waitcnt vmcnt(0)
	v_mul_f64 v[0:1], v[35:36], v[6:7]
	v_mul_f64 v[2:3], v[33:34], v[6:7]
	s_delay_alu instid0(VALU_DEP_2) | instskip(SKIP_2) | instid1(VALU_DEP_4)
	v_fma_f64 v[33:34], v[33:34], v[4:5], -v[0:1]
	v_add_co_u32 v0, vcc_lo, 0xfa00, v132
	v_add_co_ci_u32_e32 v1, vcc_lo, 0, v133, vcc_lo
	v_fma_f64 v[35:36], v[35:36], v[4:5], v[2:3]
	global_load_b128 v[4:7], v[0:1], off offset:3200
	s_waitcnt vmcnt(0)
	v_mul_f64 v[0:1], v[122:123], v[6:7]
	v_mul_f64 v[2:3], v[120:121], v[6:7]
	s_delay_alu instid0(VALU_DEP_2) | instskip(NEXT) | instid1(VALU_DEP_2)
	v_fma_f64 v[120:121], v[120:121], v[4:5], -v[0:1]
	v_fma_f64 v[122:123], v[122:123], v[4:5], v[2:3]
	global_load_b128 v[4:7], v[56:57], off offset:3968
	ds_load_b128 v[56:59], v143 offset:9600
	s_waitcnt vmcnt(0) lgkmcnt(0)
	v_mul_f64 v[0:1], v[58:59], v[6:7]
	v_mul_f64 v[2:3], v[56:57], v[6:7]
	s_delay_alu instid0(VALU_DEP_2) | instskip(SKIP_2) | instid1(VALU_DEP_4)
	v_fma_f64 v[56:57], v[56:57], v[4:5], -v[0:1]
	v_add_co_u32 v0, vcc_lo, 0x13000, v132
	v_add_co_ci_u32_e32 v1, vcc_lo, 0, v133, vcc_lo
	v_fma_f64 v[58:59], v[58:59], v[4:5], v[2:3]
	global_load_b128 v[4:7], v[0:1], off offset:2176
	ds_load_b128 v[0:3], v143 offset:16000
	s_waitcnt vmcnt(0) lgkmcnt(0)
	v_mul_f64 v[12:13], v[2:3], v[6:7]
	v_mul_f64 v[6:7], v[0:1], v[6:7]
	s_delay_alu instid0(VALU_DEP_2) | instskip(NEXT) | instid1(VALU_DEP_2)
	v_fma_f64 v[12:13], v[0:1], v[4:5], -v[12:13]
	v_fma_f64 v[14:15], v[2:3], v[4:5], v[6:7]
	global_load_b128 v[4:7], v[8:9], off offset:384
	s_waitcnt vmcnt(0)
	v_mul_f64 v[0:1], v[114:115], v[6:7]
	v_mul_f64 v[2:3], v[112:113], v[6:7]
	s_delay_alu instid0(VALU_DEP_2) | instskip(SKIP_2) | instid1(VALU_DEP_4)
	v_fma_f64 v[112:113], v[112:113], v[4:5], -v[0:1]
	v_add_co_u32 v0, vcc_lo, 0x16000, v132
	v_add_co_ci_u32_e32 v1, vcc_lo, 0, v133, vcc_lo
	v_fma_f64 v[114:115], v[114:115], v[4:5], v[2:3]
	global_load_b128 v[4:7], v[0:1], off offset:2688
	s_waitcnt vmcnt(0)
	v_mul_f64 v[0:1], v[118:119], v[6:7]
	v_mul_f64 v[2:3], v[116:117], v[6:7]
	s_delay_alu instid0(VALU_DEP_2) | instskip(SKIP_2) | instid1(VALU_DEP_4)
	v_fma_f64 v[116:117], v[116:117], v[4:5], -v[0:1]
	v_add_co_u32 v0, vcc_lo, 0x18000, v132
	v_add_co_ci_u32_e32 v1, vcc_lo, 0, v133, vcc_lo
	v_fma_f64 v[118:119], v[118:119], v[4:5], v[2:3]
	global_load_b128 v[4:7], v[0:1], off offset:896
	s_waitcnt vmcnt(0)
	v_mul_f64 v[0:1], v[150:151], v[6:7]
	v_mul_f64 v[2:3], v[148:149], v[6:7]
	s_delay_alu instid0(VALU_DEP_2) | instskip(NEXT) | instid1(VALU_DEP_2)
	v_fma_f64 v[148:149], v[148:149], v[4:5], -v[0:1]
	v_fma_f64 v[150:151], v[150:151], v[4:5], v[2:3]
	global_load_b128 v[4:7], v[10:11], off offset:3200
	ds_load_b128 v[0:3], v143 offset:41600
	s_waitcnt vmcnt(0) lgkmcnt(0)
	v_mul_f64 v[8:9], v[2:3], v[6:7]
	v_mul_f64 v[6:7], v[0:1], v[6:7]
	s_delay_alu instid0(VALU_DEP_2) | instskip(SKIP_2) | instid1(VALU_DEP_4)
	v_fma_f64 v[8:9], v[0:1], v[4:5], -v[8:9]
	v_add_co_u32 v0, vcc_lo, 0x1b000, v132
	v_add_co_ci_u32_e32 v1, vcc_lo, 0, v133, vcc_lo
	v_fma_f64 v[10:11], v[2:3], v[4:5], v[6:7]
	global_load_b128 v[4:7], v[0:1], off offset:1408
	s_waitcnt vmcnt(0)
	v_mul_f64 v[0:1], v[18:19], v[6:7]
	v_mul_f64 v[2:3], v[16:17], v[6:7]
	s_delay_alu instid0(VALU_DEP_2) | instskip(NEXT) | instid1(VALU_DEP_2)
	v_fma_f64 v[16:17], v[16:17], v[4:5], -v[0:1]
	v_fma_f64 v[18:19], v[18:19], v[4:5], v[2:3]
	global_load_b128 v[4:7], v[96:97], off offset:3712
	ds_load_b128 v[0:3], v143 offset:54400
	s_waitcnt vmcnt(0) lgkmcnt(0)
	v_mul_f64 v[96:97], v[2:3], v[6:7]
	v_mul_f64 v[6:7], v[0:1], v[6:7]
	s_delay_alu instid0(VALU_DEP_2) | instskip(NEXT) | instid1(VALU_DEP_2)
	v_fma_f64 v[0:1], v[0:1], v[4:5], -v[96:97]
	v_fma_f64 v[2:3], v[2:3], v[4:5], v[6:7]
	v_add_co_u32 v4, vcc_lo, 0x1e000, v132
	v_add_co_ci_u32_e32 v5, vcc_lo, 0, v133, vcc_lo
	ds_load_b128 v[132:135], v143 offset:60800
	global_load_b128 v[4:7], v[4:5], off offset:1920
	s_waitcnt vmcnt(0) lgkmcnt(0)
	v_mul_f64 v[96:97], v[134:135], v[6:7]
	v_mul_f64 v[6:7], v[132:133], v[6:7]
	s_delay_alu instid0(VALU_DEP_2) | instskip(NEXT) | instid1(VALU_DEP_2)
	v_fma_f64 v[132:133], v[132:133], v[4:5], -v[96:97]
	v_fma_f64 v[134:135], v[134:135], v[4:5], v[6:7]
	ds_store_b128 v143, v[45:48] offset:6400
	ds_store_b128 v143, v[120:123] offset:3200
	;; [unrolled: 1-line block ×18, first 2 shown]
	ds_store_b128 v143, v[64:67]
	ds_store_b128 v143, v[132:135] offset:60800
	s_waitcnt lgkmcnt(0)
	s_barrier
	buffer_gl0_inv
	ds_load_b128 v[0:3], v143
	ds_load_b128 v[4:7], v143 offset:12800
	ds_load_b128 v[8:11], v143 offset:25600
	s_waitcnt lgkmcnt(1)
	v_add_f64 v[12:13], v[0:1], v[4:5]
	s_waitcnt lgkmcnt(0)
	v_add_f64 v[22:23], v[4:5], -v[8:9]
	v_add_f64 v[24:25], v[8:9], -v[4:5]
	;; [unrolled: 1-line block ×4, first 2 shown]
	v_add_f64 v[16:17], v[12:13], v[8:9]
	v_add_f64 v[12:13], v[2:3], v[6:7]
	s_delay_alu instid0(VALU_DEP_1)
	v_add_f64 v[18:19], v[12:13], v[10:11]
	ds_load_b128 v[12:15], v143 offset:38400
	s_waitcnt lgkmcnt(0)
	v_add_f64 v[20:21], v[8:9], v[12:13]
	v_add_f64 v[32:33], v[10:11], -v[14:15]
	v_add_f64 v[26:27], v[10:11], v[14:15]
	v_add_f64 v[34:35], v[8:9], -v[12:13]
	ds_load_b128 v[8:11], v143 offset:51200
	s_waitcnt lgkmcnt(0)
	v_add_f64 v[36:37], v[6:7], -v[10:11]
	v_add_f64 v[38:39], v[4:5], v[8:9]
	v_add_f64 v[40:41], v[4:5], -v[8:9]
	v_add_f64 v[42:43], v[6:7], v[10:11]
	v_add_f64 v[4:5], v[16:17], v[12:13]
	;; [unrolled: 1-line block ×3, first 2 shown]
	v_add_f64 v[44:45], v[8:9], -v[12:13]
	v_add_f64 v[46:47], v[12:13], -v[8:9]
	;; [unrolled: 1-line block ×4, first 2 shown]
	v_fma_f64 v[148:149], v[26:27], -0.5, v[2:3]
	v_fma_f64 v[38:39], v[38:39], -0.5, v[0:1]
	;; [unrolled: 1-line block ×3, first 2 shown]
	v_add_f64 v[56:57], v[4:5], v[8:9]
	v_add_f64 v[58:59], v[6:7], v[10:11]
	ds_load_b128 v[4:7], v143 offset:19200
	ds_load_b128 v[8:11], v143 offset:6400
	;; [unrolled: 1-line block ×3, first 2 shown]
	v_add_f64 v[52:53], v[28:29], v[52:53]
	v_add_f64 v[28:29], v[30:31], v[54:55]
	;; [unrolled: 1-line block ×4, first 2 shown]
	s_waitcnt lgkmcnt(1)
	v_add_f64 v[16:17], v[8:9], v[4:5]
	s_waitcnt lgkmcnt(0)
	v_add_f64 v[96:97], v[4:5], -v[12:13]
	v_add_f64 v[106:107], v[12:13], -v[4:5]
	;; [unrolled: 1-line block ×4, first 2 shown]
	v_add_f64 v[60:61], v[16:17], v[12:13]
	v_add_f64 v[16:17], v[10:11], v[6:7]
	s_delay_alu instid0(VALU_DEP_1)
	v_add_f64 v[62:63], v[16:17], v[14:15]
	ds_load_b128 v[16:19], v143 offset:44800
	s_waitcnt lgkmcnt(0)
	v_add_f64 v[112:113], v[14:15], v[18:19]
	v_add_f64 v[64:65], v[12:13], v[16:17]
	v_add_f64 v[66:67], v[14:15], -v[18:19]
	v_add_f64 v[114:115], v[12:13], -v[16:17]
	ds_load_b128 v[12:15], v143 offset:57600
	s_waitcnt lgkmcnt(0)
	v_add_f64 v[120:121], v[6:7], -v[14:15]
	v_add_f64 v[122:123], v[4:5], v[12:13]
	v_add_f64 v[132:133], v[4:5], -v[12:13]
	v_add_f64 v[4:5], v[6:7], v[14:15]
	v_add_f64 v[6:7], v[60:61], v[16:17]
	;; [unrolled: 1-line block ×3, first 2 shown]
	v_add_f64 v[62:63], v[12:13], -v[16:17]
	v_add_f64 v[16:17], v[16:17], -v[12:13]
	;; [unrolled: 1-line block ×4, first 2 shown]
	v_fma_f64 v[42:43], v[112:113], -0.5, v[10:11]
	v_fma_f64 v[64:65], v[64:65], -0.5, v[8:9]
	;; [unrolled: 1-line block ×4, first 2 shown]
	v_add_f64 v[6:7], v[6:7], v[12:13]
	v_add_f64 v[12:13], v[60:61], v[14:15]
	v_fma_f64 v[60:61], v[20:21], -0.5, v[0:1]
	v_add_f64 v[30:31], v[106:107], v[16:17]
	v_add_f64 v[46:47], v[118:119], v[18:19]
	v_fma_f64 v[8:9], v[132:133], s[14:15], v[42:43]
	v_fma_f64 v[10:11], v[120:121], s[16:17], v[64:65]
	;; [unrolled: 1-line block ×4, first 2 shown]
	v_add_f64 v[0:1], v[56:57], v[6:7]
	v_add_f64 v[2:3], v[58:59], v[12:13]
	v_add_f64 v[4:5], v[56:57], -v[6:7]
	v_add_f64 v[6:7], v[58:59], -v[12:13]
	v_add_f64 v[58:59], v[116:117], v[134:135]
	v_add_f64 v[56:57], v[96:97], v[62:63]
	v_fma_f64 v[8:9], v[114:115], s[2:3], v[8:9]
	v_fma_f64 v[10:11], v[66:67], s[8:9], v[10:11]
	;; [unrolled: 1-line block ×4, first 2 shown]
	s_delay_alu instid0(VALU_DEP_4) | instskip(NEXT) | instid1(VALU_DEP_4)
	v_fma_f64 v[8:9], v[58:59], s[12:13], v[8:9]
	v_fma_f64 v[10:11], v[56:57], s[12:13], v[10:11]
	s_delay_alu instid0(VALU_DEP_4) | instskip(NEXT) | instid1(VALU_DEP_4)
	v_fma_f64 v[18:19], v[30:31], s[12:13], v[18:19]
	v_fma_f64 v[16:17], v[46:47], s[12:13], v[16:17]
	s_delay_alu instid0(VALU_DEP_4) | instskip(NEXT) | instid1(VALU_DEP_1)
	v_mul_f64 v[12:13], v[8:9], s[8:9]
	v_fma_f64 v[12:13], v[10:11], s[22:23], v[12:13]
	v_mul_f64 v[10:11], v[10:11], s[2:3]
	s_delay_alu instid0(VALU_DEP_1) | instskip(SKIP_2) | instid1(VALU_DEP_2)
	v_fma_f64 v[14:15], v[8:9], s[22:23], v[10:11]
	v_fma_f64 v[8:9], v[36:37], s[16:17], v[60:61]
	;; [unrolled: 1-line block ×4, first 2 shown]
	s_delay_alu instid0(VALU_DEP_2) | instskip(NEXT) | instid1(VALU_DEP_2)
	v_fma_f64 v[10:11], v[34:35], s[2:3], v[10:11]
	v_fma_f64 v[20:21], v[44:45], s[12:13], v[8:9]
	s_delay_alu instid0(VALU_DEP_2) | instskip(NEXT) | instid1(VALU_DEP_2)
	v_fma_f64 v[22:23], v[52:53], s[12:13], v[10:11]
	v_add_f64 v[8:9], v[20:21], v[12:13]
	v_add_f64 v[12:13], v[20:21], -v[12:13]
	v_mul_f64 v[20:21], v[16:17], s[16:17]
	v_mul_f64 v[16:17], v[16:17], s[12:13]
	v_add_f64 v[10:11], v[22:23], v[14:15]
	v_add_f64 v[14:15], v[22:23], -v[14:15]
	s_delay_alu instid0(VALU_DEP_4) | instskip(NEXT) | instid1(VALU_DEP_4)
	v_fma_f64 v[20:21], v[18:19], s[12:13], v[20:21]
	v_fma_f64 v[22:23], v[18:19], s[14:15], v[16:17]
	;; [unrolled: 1-line block ×5, first 2 shown]
	s_delay_alu instid0(VALU_DEP_3) | instskip(NEXT) | instid1(VALU_DEP_3)
	v_fma_f64 v[16:17], v[36:37], s[8:9], v[16:17]
	v_fma_f64 v[38:39], v[36:37], s[2:3], v[38:39]
	s_delay_alu instid0(VALU_DEP_3) | instskip(SKIP_1) | instid1(VALU_DEP_4)
	v_fma_f64 v[18:19], v[40:41], s[2:3], v[18:19]
	v_fma_f64 v[36:37], v[36:37], s[14:15], v[60:61]
	;; [unrolled: 1-line block ×3, first 2 shown]
	s_delay_alu instid0(VALU_DEP_4)
	v_fma_f64 v[38:39], v[24:25], s[12:13], v[38:39]
	v_fma_f64 v[24:25], v[34:35], s[14:15], v[26:27]
	v_fma_f64 v[26:27], v[66:67], s[16:17], v[112:113]
	v_fma_f64 v[62:63], v[28:29], s[12:13], v[18:19]
	v_fma_f64 v[32:33], v[32:33], s[2:3], v[36:37]
	v_add_f64 v[16:17], v[54:55], v[20:21]
	v_add_f64 v[20:21], v[54:55], -v[20:21]
	v_fma_f64 v[24:25], v[40:41], s[8:9], v[24:25]
	v_fma_f64 v[26:27], v[120:121], s[2:3], v[26:27]
	;; [unrolled: 1-line block ×3, first 2 shown]
	v_add_f64 v[18:19], v[62:63], v[22:23]
	v_add_f64 v[22:23], v[62:63], -v[22:23]
	v_fma_f64 v[54:55], v[28:29], s[12:13], v[24:25]
	v_fma_f64 v[24:25], v[114:115], s[14:15], v[122:123]
	;; [unrolled: 1-line block ×5, first 2 shown]
	s_delay_alu instid0(VALU_DEP_4) | instskip(NEXT) | instid1(VALU_DEP_1)
	v_fma_f64 v[24:25], v[132:133], s[8:9], v[24:25]
	v_fma_f64 v[24:25], v[46:47], s[12:13], v[24:25]
	s_delay_alu instid0(VALU_DEP_1) | instskip(SKIP_1) | instid1(VALU_DEP_2)
	v_mul_f64 v[28:29], v[24:25], s[16:17]
	v_mul_f64 v[24:25], v[24:25], s[18:19]
	v_fma_f64 v[28:29], v[26:27], s[18:19], v[28:29]
	s_delay_alu instid0(VALU_DEP_2) | instskip(NEXT) | instid1(VALU_DEP_2)
	v_fma_f64 v[30:31], v[26:27], s[14:15], v[24:25]
	v_add_f64 v[24:25], v[38:39], v[28:29]
	v_add_f64 v[28:29], v[38:39], -v[28:29]
	v_fma_f64 v[38:39], v[132:133], s[16:17], v[42:43]
	v_fma_f64 v[42:43], v[120:121], s[14:15], v[64:65]
	v_add_f64 v[26:27], v[54:55], v[30:31]
	v_add_f64 v[30:31], v[54:55], -v[30:31]
	s_delay_alu instid0(VALU_DEP_4) | instskip(NEXT) | instid1(VALU_DEP_4)
	v_fma_f64 v[38:39], v[114:115], s[8:9], v[38:39]
	v_fma_f64 v[36:37], v[66:67], s[2:3], v[42:43]
	;; [unrolled: 1-line block ×3, first 2 shown]
	s_delay_alu instid0(VALU_DEP_3) | instskip(NEXT) | instid1(VALU_DEP_3)
	v_fma_f64 v[38:39], v[58:59], s[12:13], v[38:39]
	v_fma_f64 v[32:33], v[56:57], s[12:13], v[36:37]
	s_delay_alu instid0(VALU_DEP_2) | instskip(SKIP_1) | instid1(VALU_DEP_2)
	v_mul_f64 v[34:35], v[38:39], s[8:9]
	v_mul_f64 v[36:37], v[38:39], s[20:21]
	v_fma_f64 v[38:39], v[32:33], s[20:21], v[34:35]
	s_delay_alu instid0(VALU_DEP_2) | instskip(NEXT) | instid1(VALU_DEP_2)
	v_fma_f64 v[44:45], v[32:33], s[2:3], v[36:37]
	v_add_f64 v[32:33], v[40:41], v[38:39]
	s_delay_alu instid0(VALU_DEP_2)
	v_add_f64 v[34:35], v[42:43], v[44:45]
	v_add_f64 v[36:37], v[40:41], -v[38:39]
	v_add_f64 v[38:39], v[42:43], -v[44:45]
	ds_load_b128 v[40:43], v143 offset:9600
	ds_load_b128 v[44:47], v143 offset:60800
	ds_load_b128 v[52:55], v143 offset:3200
	ds_load_b128 v[56:59], v143 offset:16000
	ds_load_b128 v[60:63], v143 offset:22400
	ds_load_b128 v[64:67], v143 offset:35200
	ds_load_b128 v[112:115], v143 offset:48000
	ds_load_b128 v[116:119], v143 offset:28800
	ds_load_b128 v[120:123], v143 offset:41600
	ds_load_b128 v[132:135], v143 offset:54400
	s_waitcnt lgkmcnt(0)
	s_barrier
	buffer_gl0_inv
	ds_store_b128 v137, v[0:3]
	ds_store_b128 v137, v[4:7] offset:80
	ds_store_b128 v137, v[8:11] offset:16
	;; [unrolled: 1-line block ×9, first 2 shown]
	v_add_f64 v[0:1], v[52:53], v[56:57]
	v_add_f64 v[2:3], v[54:55], v[58:59]
	;; [unrolled: 1-line block ×3, first 2 shown]
	v_add_f64 v[8:9], v[56:57], -v[116:117]
	v_add_f64 v[16:17], v[116:117], -v[56:57]
	;; [unrolled: 1-line block ×4, first 2 shown]
	v_add_f64 v[6:7], v[118:119], v[122:123]
	v_add_f64 v[12:13], v[56:57], v[132:133]
	v_add_f64 v[38:39], v[56:57], -v[132:133]
	v_add_f64 v[20:21], v[132:133], -v[120:121]
	;; [unrolled: 1-line block ×5, first 2 shown]
	v_add_f64 v[56:57], v[64:65], v[112:113]
	v_add_f64 v[96:97], v[60:61], -v[64:65]
	v_add_f64 v[106:107], v[64:65], -v[60:61]
	;; [unrolled: 1-line block ×5, first 2 shown]
	v_add_f64 v[14:15], v[58:59], v[134:135]
	v_add_f64 v[58:59], v[66:67], -v[114:115]
	v_add_f64 v[0:1], v[0:1], v[116:117]
	v_add_f64 v[2:3], v[2:3], v[118:119]
	;; [unrolled: 1-line block ×3, first 2 shown]
	v_add_f64 v[118:119], v[62:63], -v[66:67]
	v_fma_f64 v[148:149], v[4:5], -0.5, v[52:53]
	v_fma_f64 v[150:151], v[6:7], -0.5, v[54:55]
	;; [unrolled: 1-line block ×4, first 2 shown]
	v_add_f64 v[26:27], v[18:19], v[26:27]
	v_fma_f64 v[54:55], v[14:15], -0.5, v[54:55]
	v_add_f64 v[0:1], v[0:1], v[120:121]
	v_add_f64 v[2:3], v[2:3], v[122:123]
	v_add_f64 v[122:123], v[60:61], v[44:45]
	v_fma_f64 v[116:117], v[116:117], -0.5, v[42:43]
	v_add_f64 v[120:121], v[62:63], -v[46:47]
	v_add_f64 v[28:29], v[0:1], v[132:133]
	v_add_f64 v[0:1], v[40:41], v[60:61]
	;; [unrolled: 1-line block ×4, first 2 shown]
	v_add_f64 v[60:61], v[60:61], -v[44:45]
	v_add_f64 v[132:133], v[44:45], -v[112:113]
	;; [unrolled: 1-line block ×3, first 2 shown]
	v_fma_f64 v[40:41], v[122:123], -0.5, v[40:41]
	v_add_f64 v[0:1], v[0:1], v[64:65]
	v_add_f64 v[64:65], v[64:65], -v[112:113]
	v_add_f64 v[2:3], v[2:3], v[66:67]
	v_add_f64 v[66:67], v[66:67], -v[62:63]
	v_add_f64 v[62:63], v[62:63], v[46:47]
	v_fma_f64 v[18:19], v[58:59], s[14:15], v[40:41]
	v_add_f64 v[0:1], v[0:1], v[112:113]
	v_add_f64 v[112:113], v[112:113], -v[44:45]
	v_add_f64 v[2:3], v[2:3], v[114:115]
	v_add_f64 v[114:115], v[114:115], -v[46:47]
	v_fma_f64 v[42:43], v[62:63], -0.5, v[42:43]
	v_add_f64 v[62:63], v[96:97], v[132:133]
	v_add_f64 v[96:97], v[118:119], v[134:135]
	v_fma_f64 v[18:19], v[120:121], s[8:9], v[18:19]
	v_add_f64 v[44:45], v[0:1], v[44:45]
	v_add_f64 v[46:47], v[2:3], v[46:47]
	s_delay_alu instid0(VALU_DEP_2)
	v_add_f64 v[0:1], v[28:29], v[44:45]
	v_add_f64 v[4:5], v[28:29], -v[44:45]
	v_add_f64 v[44:45], v[8:9], v[20:21]
	v_fma_f64 v[8:9], v[60:61], s[14:15], v[116:117]
	v_add_f64 v[2:3], v[30:31], v[46:47]
	v_add_f64 v[6:7], v[30:31], -v[46:47]
	v_add_f64 v[46:47], v[10:11], v[24:25]
	v_fma_f64 v[10:11], v[120:121], s[16:17], v[56:57]
	v_add_f64 v[30:31], v[66:67], v[114:115]
	v_add_f64 v[28:29], v[106:107], v[112:113]
	v_fma_f64 v[8:9], v[64:65], s[2:3], v[8:9]
	s_delay_alu instid0(VALU_DEP_4) | instskip(NEXT) | instid1(VALU_DEP_3)
	v_fma_f64 v[10:11], v[58:59], s[8:9], v[10:11]
	v_fma_f64 v[18:19], v[28:29], s[12:13], v[18:19]
	s_delay_alu instid0(VALU_DEP_3) | instskip(NEXT) | instid1(VALU_DEP_3)
	v_fma_f64 v[8:9], v[96:97], s[12:13], v[8:9]
	v_fma_f64 v[10:11], v[62:63], s[12:13], v[10:11]
	s_delay_alu instid0(VALU_DEP_2) | instskip(NEXT) | instid1(VALU_DEP_1)
	v_mul_f64 v[12:13], v[8:9], s[8:9]
	v_fma_f64 v[12:13], v[10:11], s[22:23], v[12:13]
	v_mul_f64 v[10:11], v[10:11], s[2:3]
	s_delay_alu instid0(VALU_DEP_1) | instskip(SKIP_2) | instid1(VALU_DEP_2)
	v_fma_f64 v[14:15], v[8:9], s[22:23], v[10:11]
	v_fma_f64 v[10:11], v[38:39], s[14:15], v[150:151]
	v_fma_f64 v[8:9], v[36:37], s[16:17], v[148:149]
	v_fma_f64 v[10:11], v[34:35], s[2:3], v[10:11]
	s_delay_alu instid0(VALU_DEP_2) | instskip(NEXT) | instid1(VALU_DEP_2)
	v_fma_f64 v[8:9], v[32:33], s[8:9], v[8:9]
	v_fma_f64 v[24:25], v[46:47], s[12:13], v[10:11]
	s_delay_alu instid0(VALU_DEP_2) | instskip(NEXT) | instid1(VALU_DEP_2)
	v_fma_f64 v[20:21], v[44:45], s[12:13], v[8:9]
	v_add_f64 v[10:11], v[24:25], v[14:15]
	v_add_f64 v[14:15], v[24:25], -v[14:15]
	v_add_f64 v[24:25], v[16:17], v[22:23]
	v_fma_f64 v[16:17], v[64:65], s[16:17], v[42:43]
	v_add_f64 v[8:9], v[20:21], v[12:13]
	v_add_f64 v[12:13], v[20:21], -v[12:13]
	s_delay_alu instid0(VALU_DEP_3) | instskip(NEXT) | instid1(VALU_DEP_1)
	v_fma_f64 v[16:17], v[60:61], s[2:3], v[16:17]
	v_fma_f64 v[16:17], v[30:31], s[12:13], v[16:17]
	s_delay_alu instid0(VALU_DEP_1) | instskip(SKIP_1) | instid1(VALU_DEP_2)
	v_mul_f64 v[20:21], v[16:17], s[16:17]
	v_mul_f64 v[16:17], v[16:17], s[12:13]
	v_fma_f64 v[20:21], v[18:19], s[12:13], v[20:21]
	s_delay_alu instid0(VALU_DEP_2) | instskip(SKIP_3) | instid1(VALU_DEP_3)
	v_fma_f64 v[22:23], v[18:19], s[14:15], v[16:17]
	v_fma_f64 v[16:17], v[32:33], s[14:15], v[52:53]
	;; [unrolled: 1-line block ×5, first 2 shown]
	s_delay_alu instid0(VALU_DEP_3) | instskip(NEXT) | instid1(VALU_DEP_3)
	v_fma_f64 v[52:53], v[36:37], s[2:3], v[52:53]
	v_fma_f64 v[18:19], v[38:39], s[2:3], v[18:19]
	;; [unrolled: 1-line block ×3, first 2 shown]
	s_delay_alu instid0(VALU_DEP_4) | instskip(NEXT) | instid1(VALU_DEP_4)
	v_fma_f64 v[66:67], v[24:25], s[12:13], v[16:17]
	v_fma_f64 v[52:53], v[24:25], s[12:13], v[52:53]
	v_fma_f64 v[24:25], v[34:35], s[14:15], v[54:55]
	v_fma_f64 v[106:107], v[26:27], s[12:13], v[18:19]
	v_fma_f64 v[32:33], v[32:33], s[2:3], v[36:37]
	v_add_f64 v[16:17], v[66:67], v[20:21]
	v_add_f64 v[20:21], v[66:67], -v[20:21]
	v_fma_f64 v[24:25], v[38:39], s[8:9], v[24:25]
	v_fma_f64 v[38:39], v[38:39], s[16:17], v[150:151]
	v_add_f64 v[18:19], v[106:107], v[22:23]
	v_add_f64 v[22:23], v[106:107], -v[22:23]
	s_delay_alu instid0(VALU_DEP_4)
	v_fma_f64 v[54:55], v[26:27], s[12:13], v[24:25]
	v_fma_f64 v[24:25], v[64:65], s[14:15], v[42:43]
	;; [unrolled: 1-line block ×16, first 2 shown]
	v_mul_f64 v[28:29], v[24:25], s[16:17]
	v_mul_f64 v[24:25], v[24:25], s[18:19]
	;; [unrolled: 1-line block ×4, first 2 shown]
	s_delay_alu instid0(VALU_DEP_4) | instskip(NEXT) | instid1(VALU_DEP_4)
	v_fma_f64 v[28:29], v[26:27], s[18:19], v[28:29]
	v_fma_f64 v[30:31], v[26:27], s[14:15], v[24:25]
	s_delay_alu instid0(VALU_DEP_4) | instskip(NEXT) | instid1(VALU_DEP_4)
	v_fma_f64 v[38:39], v[32:33], s[20:21], v[34:35]
	v_fma_f64 v[44:45], v[32:33], s[2:3], v[36:37]
	s_delay_alu instid0(VALU_DEP_4) | instskip(NEXT) | instid1(VALU_DEP_4)
	v_add_f64 v[24:25], v[52:53], v[28:29]
	v_add_f64 v[26:27], v[54:55], v[30:31]
	s_delay_alu instid0(VALU_DEP_4) | instskip(NEXT) | instid1(VALU_DEP_4)
	v_add_f64 v[32:33], v[40:41], v[38:39]
	v_add_f64 v[34:35], v[42:43], v[44:45]
	v_add_f64 v[28:29], v[52:53], -v[28:29]
	v_add_f64 v[30:31], v[54:55], -v[30:31]
	;; [unrolled: 1-line block ×4, first 2 shown]
	ds_store_b128 v136, v[0:3]
	ds_store_b128 v136, v[8:11] offset:16
	ds_store_b128 v136, v[16:19] offset:32
	;; [unrolled: 1-line block ×9, first 2 shown]
	s_waitcnt lgkmcnt(0)
	s_barrier
	buffer_gl0_inv
	scratch_load_b128 v[6:9], off, off offset:328 ; 16-byte Folded Reload
	ds_load_b128 v[0:3], v143 offset:6400
	s_waitcnt vmcnt(0) lgkmcnt(0)
	v_mul_f64 v[4:5], v[8:9], v[2:3]
	s_delay_alu instid0(VALU_DEP_1) | instskip(SKIP_1) | instid1(VALU_DEP_1)
	v_fma_f64 v[22:23], v[6:7], v[0:1], v[4:5]
	v_mul_f64 v[0:1], v[8:9], v[0:1]
	v_fma_f64 v[24:25], v[6:7], v[2:3], -v[0:1]
	scratch_load_b128 v[6:9], off, off offset:344 ; 16-byte Folded Reload
	ds_load_b128 v[0:3], v143 offset:12800
	s_waitcnt vmcnt(0) lgkmcnt(0)
	v_mul_f64 v[4:5], v[8:9], v[2:3]
	s_delay_alu instid0(VALU_DEP_1) | instskip(SKIP_1) | instid1(VALU_DEP_1)
	v_fma_f64 v[26:27], v[6:7], v[0:1], v[4:5]
	v_mul_f64 v[0:1], v[8:9], v[0:1]
	v_fma_f64 v[28:29], v[6:7], v[2:3], -v[0:1]
	;; [unrolled: 8-line block ×3, first 2 shown]
	scratch_load_b128 v[6:9], off, off offset:376 ; 16-byte Folded Reload
	ds_load_b128 v[0:3], v143 offset:25600
	v_add_f64 v[12:13], v[24:25], v[32:33]
	s_waitcnt vmcnt(0) lgkmcnt(0)
	v_mul_f64 v[4:5], v[8:9], v[2:3]
	s_delay_alu instid0(VALU_DEP_1) | instskip(SKIP_1) | instid1(VALU_DEP_1)
	v_fma_f64 v[34:35], v[6:7], v[0:1], v[4:5]
	v_mul_f64 v[0:1], v[8:9], v[0:1]
	v_fma_f64 v[36:37], v[6:7], v[2:3], -v[0:1]
	scratch_load_b128 v[6:9], off, off offset:392 ; 16-byte Folded Reload
	ds_load_b128 v[0:3], v143 offset:32000
	s_waitcnt vmcnt(0) lgkmcnt(0)
	v_mul_f64 v[4:5], v[8:9], v[2:3]
	s_delay_alu instid0(VALU_DEP_1) | instskip(SKIP_1) | instid1(VALU_DEP_1)
	v_fma_f64 v[38:39], v[6:7], v[0:1], v[4:5]
	v_mul_f64 v[0:1], v[8:9], v[0:1]
	v_fma_f64 v[40:41], v[6:7], v[2:3], -v[0:1]
	scratch_load_b128 v[6:9], off, off offset:408 ; 16-byte Folded Reload
	ds_load_b128 v[0:3], v143 offset:38400
	v_add_f64 v[12:13], v[12:13], v[40:41]
	s_waitcnt vmcnt(0) lgkmcnt(0)
	v_mul_f64 v[4:5], v[8:9], v[2:3]
	s_delay_alu instid0(VALU_DEP_1) | instskip(SKIP_1) | instid1(VALU_DEP_2)
	v_fma_f64 v[42:43], v[6:7], v[0:1], v[4:5]
	v_mul_f64 v[0:1], v[8:9], v[0:1]
	v_add_f64 v[10:11], v[34:35], v[42:43]
	s_delay_alu instid0(VALU_DEP_2) | instskip(SKIP_4) | instid1(VALU_DEP_1)
	v_fma_f64 v[44:45], v[6:7], v[2:3], -v[0:1]
	scratch_load_b128 v[6:9], off, off offset:424 ; 16-byte Folded Reload
	ds_load_b128 v[0:3], v143 offset:44800
	s_waitcnt vmcnt(0) lgkmcnt(0)
	v_mul_f64 v[4:5], v[8:9], v[2:3]
	v_fma_f64 v[46:47], v[6:7], v[0:1], v[4:5]
	v_mul_f64 v[0:1], v[8:9], v[0:1]
	s_delay_alu instid0(VALU_DEP_1)
	v_fma_f64 v[52:53], v[6:7], v[2:3], -v[0:1]
	scratch_load_b128 v[6:9], off, off offset:440 ; 16-byte Folded Reload
	ds_load_b128 v[0:3], v143 offset:51200
	v_add_f64 v[12:13], v[12:13], v[52:53]
	s_waitcnt vmcnt(0) lgkmcnt(0)
	v_mul_f64 v[4:5], v[8:9], v[2:3]
	s_delay_alu instid0(VALU_DEP_1) | instskip(SKIP_1) | instid1(VALU_DEP_2)
	v_fma_f64 v[54:55], v[6:7], v[0:1], v[4:5]
	v_mul_f64 v[0:1], v[8:9], v[0:1]
	v_add_f64 v[76:77], v[26:27], -v[54:55]
	s_delay_alu instid0(VALU_DEP_2) | instskip(SKIP_4) | instid1(VALU_DEP_1)
	v_fma_f64 v[56:57], v[6:7], v[2:3], -v[0:1]
	ds_load_b128 v[0:3], v143 offset:57600
	ds_load_b128 v[6:9], v143 offset:16000
	s_waitcnt lgkmcnt(1)
	v_mul_f64 v[4:5], v[82:83], v[2:3]
	v_fma_f64 v[58:59], v[80:81], v[0:1], v[4:5]
	v_mul_f64 v[0:1], v[82:83], v[0:1]
	s_delay_alu instid0(VALU_DEP_2) | instskip(NEXT) | instid1(VALU_DEP_2)
	v_add_f64 v[150:151], v[30:31], -v[58:59]
	v_fma_f64 v[60:61], v[80:81], v[2:3], -v[0:1]
	ds_load_b128 v[0:3], v143 offset:9600
	s_waitcnt lgkmcnt(0)
	v_mul_f64 v[4:5], v[94:95], v[2:3]
	v_add_f64 v[12:13], v[12:13], v[60:61]
	s_delay_alu instid0(VALU_DEP_2) | instskip(SKIP_1) | instid1(VALU_DEP_1)
	v_fma_f64 v[68:69], v[92:93], v[0:1], v[4:5]
	v_mul_f64 v[0:1], v[94:95], v[0:1]
	v_fma_f64 v[50:51], v[92:93], v[2:3], -v[0:1]
	scratch_load_b128 v[2:5], off, off offset:456 ; 16-byte Folded Reload
	v_mul_f64 v[0:1], v[104:105], v[8:9]
	s_delay_alu instid0(VALU_DEP_1) | instskip(SKIP_1) | instid1(VALU_DEP_1)
	v_fma_f64 v[82:83], v[102:103], v[6:7], v[0:1]
	v_mul_f64 v[0:1], v[104:105], v[6:7]
	v_fma_f64 v[92:93], v[102:103], v[8:9], -v[0:1]
	ds_load_b128 v[6:9], v143 offset:22400
	s_waitcnt vmcnt(0) lgkmcnt(0)
	v_mul_f64 v[0:1], v[4:5], v[8:9]
	s_delay_alu instid0(VALU_DEP_1) | instskip(SKIP_1) | instid1(VALU_DEP_1)
	v_fma_f64 v[94:95], v[2:3], v[6:7], v[0:1]
	v_mul_f64 v[0:1], v[4:5], v[6:7]
	v_fma_f64 v[80:81], v[2:3], v[8:9], -v[0:1]
	scratch_load_b128 v[2:5], off, off offset:472 ; 16-byte Folded Reload
	ds_load_b128 v[6:9], v143 offset:28800
	s_waitcnt lgkmcnt(0)
	v_mul_f64 v[0:1], v[100:101], v[8:9]
	s_delay_alu instid0(VALU_DEP_1) | instskip(SKIP_1) | instid1(VALU_DEP_1)
	v_fma_f64 v[96:97], v[98:99], v[6:7], v[0:1]
	v_mul_f64 v[0:1], v[100:101], v[6:7]
	v_fma_f64 v[98:99], v[98:99], v[8:9], -v[0:1]
	ds_load_b128 v[6:9], v143 offset:35200
	s_waitcnt vmcnt(0) lgkmcnt(0)
	v_mul_f64 v[0:1], v[4:5], v[8:9]
	s_delay_alu instid0(VALU_DEP_1) | instskip(SKIP_1) | instid1(VALU_DEP_1)
	v_fma_f64 v[102:103], v[2:3], v[6:7], v[0:1]
	v_mul_f64 v[0:1], v[4:5], v[6:7]
	v_fma_f64 v[100:101], v[2:3], v[8:9], -v[0:1]
	scratch_load_b128 v[2:5], off, off offset:488 ; 16-byte Folded Reload
	ds_load_b128 v[6:9], v143 offset:41600
	s_waitcnt lgkmcnt(0)
	v_mul_f64 v[0:1], v[110:111], v[8:9]
	s_delay_alu instid0(VALU_DEP_1) | instskip(SKIP_1) | instid1(VALU_DEP_1)
	v_fma_f64 v[106:107], v[108:109], v[6:7], v[0:1]
	v_mul_f64 v[0:1], v[110:111], v[6:7]
	v_fma_f64 v[108:109], v[108:109], v[8:9], -v[0:1]
	ds_load_b128 v[6:9], v143 offset:48000
	s_waitcnt vmcnt(0) lgkmcnt(0)
	v_mul_f64 v[0:1], v[4:5], v[8:9]
	s_delay_alu instid0(VALU_DEP_1) | instskip(SKIP_2) | instid1(VALU_DEP_2)
	v_fma_f64 v[110:111], v[2:3], v[6:7], v[0:1]
	v_mul_f64 v[0:1], v[4:5], v[6:7]
	v_add_f64 v[4:5], v[36:37], -v[44:45]
	v_fma_f64 v[104:105], v[2:3], v[8:9], -v[0:1]
	ds_load_b128 v[6:9], v143 offset:54400
	v_add_f64 v[2:3], v[34:35], -v[42:43]
	s_waitcnt lgkmcnt(0)
	v_mul_f64 v[0:1], v[162:163], v[8:9]
	s_delay_alu instid0(VALU_DEP_1) | instskip(SKIP_2) | instid1(VALU_DEP_2)
	v_fma_f64 v[114:115], v[160:161], v[6:7], v[0:1]
	v_mul_f64 v[0:1], v[162:163], v[6:7]
	v_add_f64 v[162:163], v[32:33], -v[60:61]
	v_fma_f64 v[116:117], v[160:161], v[8:9], -v[0:1]
	ds_load_b128 v[6:9], v143 offset:60800
	v_add_f64 v[160:161], v[38:39], -v[46:47]
	s_waitcnt lgkmcnt(0)
	v_mul_f64 v[0:1], v[166:167], v[8:9]
	s_delay_alu instid0(VALU_DEP_1) | instskip(SKIP_2) | instid1(VALU_DEP_3)
	v_fma_f64 v[118:119], v[164:165], v[6:7], v[0:1]
	v_mul_f64 v[0:1], v[166:167], v[6:7]
	v_add_f64 v[166:167], v[28:29], -v[56:57]
	v_add_f64 v[74:75], v[110:111], -v[118:119]
	s_delay_alu instid0(VALU_DEP_3)
	v_fma_f64 v[48:49], v[164:165], v[8:9], -v[0:1]
	ds_load_b128 v[6:9], v143
	v_add_f64 v[164:165], v[40:41], -v[52:53]
	s_waitcnt lgkmcnt(0)
	v_fma_f64 v[62:63], v[10:11], -0.5, v[6:7]
	v_add_f64 v[10:11], v[26:27], v[54:55]
	s_delay_alu instid0(VALU_DEP_1) | instskip(SKIP_2) | instid1(VALU_DEP_2)
	v_fma_f64 v[64:65], v[10:11], -0.5, v[6:7]
	v_add_f64 v[10:11], v[36:37], v[44:45]
	v_add_f64 v[6:7], v[6:7], v[26:27]
	v_fma_f64 v[66:67], v[10:11], -0.5, v[8:9]
	v_add_f64 v[10:11], v[28:29], v[56:57]
	s_delay_alu instid0(VALU_DEP_3) | instskip(NEXT) | instid1(VALU_DEP_2)
	v_add_f64 v[6:7], v[6:7], v[34:35]
	v_fma_f64 v[112:113], v[10:11], -0.5, v[8:9]
	v_add_f64 v[8:9], v[8:9], v[28:29]
	v_add_f64 v[10:11], v[22:23], v[30:31]
	s_delay_alu instid0(VALU_DEP_4) | instskip(NEXT) | instid1(VALU_DEP_3)
	v_add_f64 v[6:7], v[6:7], v[42:43]
	v_add_f64 v[8:9], v[8:9], v[36:37]
	s_delay_alu instid0(VALU_DEP_3) | instskip(NEXT) | instid1(VALU_DEP_3)
	v_add_f64 v[10:11], v[10:11], v[38:39]
	v_add_f64 v[14:15], v[6:7], v[54:55]
	s_delay_alu instid0(VALU_DEP_3) | instskip(NEXT) | instid1(VALU_DEP_3)
	v_add_f64 v[8:9], v[8:9], v[44:45]
	v_add_f64 v[10:11], v[10:11], v[46:47]
	s_delay_alu instid0(VALU_DEP_2) | instskip(NEXT) | instid1(VALU_DEP_2)
	v_add_f64 v[16:17], v[8:9], v[56:57]
	v_add_f64 v[10:11], v[10:11], v[58:59]
	s_delay_alu instid0(VALU_DEP_2) | instskip(NEXT) | instid1(VALU_DEP_2)
	v_add_f64 v[8:9], v[16:17], v[12:13]
	v_add_f64 v[6:7], v[14:15], v[10:11]
	v_add_f64 v[10:11], v[14:15], -v[10:11]
	v_add_f64 v[12:13], v[16:17], -v[12:13]
	;; [unrolled: 1-line block ×4, first 2 shown]
	s_delay_alu instid0(VALU_DEP_1) | instskip(SKIP_4) | instid1(VALU_DEP_3)
	v_add_f64 v[120:121], v[14:15], v[16:17]
	v_add_f64 v[14:15], v[28:29], -v[36:37]
	v_add_f64 v[16:17], v[56:57], -v[44:45]
	;; [unrolled: 1-line block ×4, first 2 shown]
	v_add_f64 v[122:123], v[14:15], v[16:17]
	v_add_f64 v[14:15], v[30:31], -v[38:39]
	v_add_f64 v[16:17], v[58:59], -v[46:47]
	v_add_f64 v[30:31], v[30:31], v[58:59]
	s_delay_alu instid0(VALU_DEP_2) | instskip(SKIP_2) | instid1(VALU_DEP_4)
	v_add_f64 v[132:133], v[14:15], v[16:17]
	v_add_f64 v[14:15], v[32:33], -v[40:41]
	v_add_f64 v[16:17], v[60:61], -v[52:53]
	v_fma_f64 v[30:31], v[30:31], -0.5, v[22:23]
	s_delay_alu instid0(VALU_DEP_2) | instskip(SKIP_3) | instid1(VALU_DEP_3)
	v_add_f64 v[134:135], v[14:15], v[16:17]
	v_add_f64 v[14:15], v[38:39], v[46:47]
	v_add_f64 v[38:39], v[46:47], -v[58:59]
	v_add_f64 v[58:59], v[100:101], -v[104:105]
	v_fma_f64 v[136:137], v[14:15], -0.5, v[22:23]
	v_add_f64 v[14:15], v[40:41], v[52:53]
	v_add_f64 v[40:41], v[40:41], -v[32:33]
	v_add_f64 v[32:33], v[32:33], v[60:61]
	v_add_f64 v[36:37], v[36:37], v[38:39]
	v_fma_f64 v[16:17], v[162:163], s[16:17], v[136:137]
	v_fma_f64 v[148:149], v[14:15], -0.5, v[24:25]
	s_delay_alu instid0(VALU_DEP_4)
	v_fma_f64 v[32:33], v[32:33], -0.5, v[24:25]
	v_fma_f64 v[24:25], v[164:165], s[14:15], v[30:31]
	v_fma_f64 v[30:31], v[164:165], s[16:17], v[30:31]
	;; [unrolled: 1-line block ×15, first 2 shown]
	s_delay_alu instid0(VALU_DEP_1) | instskip(SKIP_1) | instid1(VALU_DEP_2)
	v_mul_f64 v[18:19], v[14:15], s[8:9]
	v_mul_f64 v[14:15], v[14:15], s[22:23]
	v_fma_f64 v[18:19], v[16:17], s[22:23], v[18:19]
	s_delay_alu instid0(VALU_DEP_2) | instskip(SKIP_2) | instid1(VALU_DEP_2)
	v_fma_f64 v[20:21], v[16:17], s[2:3], v[14:15]
	v_fma_f64 v[16:17], v[76:77], s[14:15], v[66:67]
	;; [unrolled: 1-line block ×4, first 2 shown]
	s_delay_alu instid0(VALU_DEP_2) | instskip(NEXT) | instid1(VALU_DEP_2)
	v_fma_f64 v[14:15], v[4:5], s[8:9], v[14:15]
	v_fma_f64 v[0:1], v[122:123], s[12:13], v[16:17]
	s_delay_alu instid0(VALU_DEP_2) | instskip(NEXT) | instid1(VALU_DEP_2)
	v_fma_f64 v[85:86], v[120:121], s[12:13], v[14:15]
	v_add_f64 v[16:17], v[0:1], v[20:21]
	v_add_f64 v[20:21], v[0:1], -v[20:21]
	v_add_f64 v[0:1], v[34:35], -v[26:27]
	;; [unrolled: 1-line block ×5, first 2 shown]
	ds_load_b128 v[52:55], v143 offset:3200
	v_add_f64 v[14:15], v[85:86], v[18:19]
	v_add_f64 v[18:19], v[85:86], -v[18:19]
	s_waitcnt lgkmcnt(0)
	s_barrier
	buffer_gl0_inv
	v_add_f64 v[56:57], v[80:81], -v[48:49]
	v_add_f64 v[60:61], v[92:93], -v[116:117]
	v_add_f64 v[0:1], v[0:1], v[26:27]
	v_add_f64 v[38:39], v[40:41], v[42:43]
	;; [unrolled: 1-line block ×3, first 2 shown]
	s_delay_alu instid0(VALU_DEP_2) | instskip(SKIP_3) | instid1(VALU_DEP_4)
	v_fma_f64 v[22:23], v[38:39], s[12:13], v[22:23]
	v_fma_f64 v[32:33], v[38:39], s[12:13], v[32:33]
	;; [unrolled: 1-line block ×3, first 2 shown]
	v_add_f64 v[62:63], v[98:99], -v[108:109]
	v_mul_f64 v[26:27], v[22:23], s[16:17]
	v_mul_f64 v[22:23], v[22:23], s[12:13]
	s_delay_alu instid0(VALU_DEP_2) | instskip(NEXT) | instid1(VALU_DEP_2)
	v_fma_f64 v[26:27], v[24:25], s[12:13], v[26:27]
	v_fma_f64 v[28:29], v[24:25], s[14:15], v[22:23]
	;; [unrolled: 1-line block ×4, first 2 shown]
	s_delay_alu instid0(VALU_DEP_2) | instskip(NEXT) | instid1(VALU_DEP_2)
	v_fma_f64 v[22:23], v[166:167], s[8:9], v[22:23]
	v_fma_f64 v[24:25], v[76:77], s[2:3], v[24:25]
	s_delay_alu instid0(VALU_DEP_2) | instskip(NEXT) | instid1(VALU_DEP_2)
	v_fma_f64 v[40:41], v[0:1], s[12:13], v[22:23]
	v_fma_f64 v[42:43], v[34:35], s[12:13], v[24:25]
	s_delay_alu instid0(VALU_DEP_2) | instskip(SKIP_2) | instid1(VALU_DEP_4)
	v_add_f64 v[22:23], v[40:41], v[26:27]
	v_add_f64 v[26:27], v[40:41], -v[26:27]
	v_fma_f64 v[40:41], v[4:5], s[16:17], v[64:65]
	v_add_f64 v[24:25], v[42:43], v[28:29]
	v_add_f64 v[28:29], v[42:43], -v[28:29]
	v_fma_f64 v[42:43], v[162:163], s[14:15], v[136:137]
	v_fma_f64 v[4:5], v[4:5], s[2:3], v[38:39]
	v_add_f64 v[64:65], v[82:83], -v[114:115]
	v_fma_f64 v[40:41], v[166:167], s[2:3], v[40:41]
	s_delay_alu instid0(VALU_DEP_4) | instskip(NEXT) | instid1(VALU_DEP_4)
	v_fma_f64 v[38:39], v[164:165], s[2:3], v[42:43]
	v_fma_f64 v[4:5], v[120:121], s[12:13], v[4:5]
	s_delay_alu instid0(VALU_DEP_3) | instskip(SKIP_1) | instid1(VALU_DEP_4)
	v_fma_f64 v[0:1], v[0:1], s[12:13], v[40:41]
	v_fma_f64 v[40:41], v[2:3], s[14:15], v[112:113]
	v_fma_f64 v[38:39], v[132:133], s[12:13], v[38:39]
	s_delay_alu instid0(VALU_DEP_2) | instskip(NEXT) | instid1(VALU_DEP_1)
	v_fma_f64 v[40:41], v[76:77], s[8:9], v[40:41]
	v_fma_f64 v[40:41], v[34:35], s[12:13], v[40:41]
	v_mul_f64 v[34:35], v[32:33], s[16:17]
	v_mul_f64 v[32:33], v[32:33], s[18:19]
	s_delay_alu instid0(VALU_DEP_2) | instskip(NEXT) | instid1(VALU_DEP_2)
	v_fma_f64 v[34:35], v[30:31], s[18:19], v[34:35]
	v_fma_f64 v[36:37], v[30:31], s[14:15], v[32:33]
	s_delay_alu instid0(VALU_DEP_2) | instskip(SKIP_2) | instid1(VALU_DEP_4)
	v_add_f64 v[30:31], v[0:1], v[34:35]
	v_add_f64 v[34:35], v[0:1], -v[34:35]
	v_fma_f64 v[0:1], v[150:151], s[16:17], v[148:149]
	v_add_f64 v[32:33], v[40:41], v[36:37]
	v_add_f64 v[36:37], v[40:41], -v[36:37]
	v_fma_f64 v[40:41], v[76:77], s[16:17], v[66:67]
	v_add_f64 v[66:67], v[96:97], -v[106:107]
	v_add_f64 v[76:77], v[100:101], -v[80:81]
	v_fma_f64 v[0:1], v[160:161], s[8:9], v[0:1]
	s_delay_alu instid0(VALU_DEP_4) | instskip(NEXT) | instid1(VALU_DEP_2)
	v_fma_f64 v[2:3], v[2:3], s[8:9], v[40:41]
	v_fma_f64 v[0:1], v[134:135], s[12:13], v[0:1]
	s_delay_alu instid0(VALU_DEP_2) | instskip(NEXT) | instid1(VALU_DEP_2)
	v_fma_f64 v[2:3], v[122:123], s[12:13], v[2:3]
	v_mul_f64 v[40:41], v[0:1], s[8:9]
	v_mul_f64 v[0:1], v[0:1], s[20:21]
	s_delay_alu instid0(VALU_DEP_2) | instskip(NEXT) | instid1(VALU_DEP_2)
	v_fma_f64 v[42:43], v[38:39], s[20:21], v[40:41]
	v_fma_f64 v[0:1], v[38:39], s[2:3], v[0:1]
	s_delay_alu instid0(VALU_DEP_2) | instskip(NEXT) | instid1(VALU_DEP_2)
	v_add_f64 v[38:39], v[4:5], v[42:43]
	v_add_f64 v[40:41], v[2:3], v[0:1]
	v_add_f64 v[44:45], v[2:3], -v[0:1]
	v_add_f64 v[0:1], v[96:97], v[106:107]
	v_add_f64 v[42:43], v[4:5], -v[42:43]
	ds_store_b128 v138, v[6:9]
	ds_store_b128 v138, v[10:13] offset:800
	ds_store_b128 v138, v[14:17] offset:160
	;; [unrolled: 1-line block ×9, first 2 shown]
	v_add_f64 v[2:3], v[54:55], v[92:93]
	v_add_f64 v[6:7], v[68:69], v[94:95]
	;; [unrolled: 1-line block ×4, first 2 shown]
	v_add_f64 v[30:31], v[102:103], -v[94:95]
	v_add_f64 v[22:23], v[98:99], -v[92:93]
	v_fma_f64 v[4:5], v[0:1], -0.5, v[52:53]
	v_add_f64 v[0:1], v[82:83], v[114:115]
	v_add_f64 v[24:25], v[108:109], -v[116:117]
	v_add_f64 v[2:3], v[2:3], v[98:99]
	v_add_f64 v[6:7], v[6:7], v[102:103]
	;; [unrolled: 1-line block ×3, first 2 shown]
	v_fma_f64 v[32:33], v[32:33], -0.5, v[68:69]
	v_add_f64 v[30:31], v[30:31], v[74:75]
	v_fma_f64 v[26:27], v[0:1], -0.5, v[52:53]
	v_add_f64 v[0:1], v[98:99], v[108:109]
	v_add_f64 v[2:3], v[2:3], v[108:109]
	;; [unrolled: 1-line block ×4, first 2 shown]
	s_delay_alu instid0(VALU_DEP_4) | instskip(SKIP_4) | instid1(VALU_DEP_4)
	v_fma_f64 v[34:35], v[0:1], -0.5, v[54:55]
	v_add_f64 v[0:1], v[92:93], v[116:117]
	v_add_f64 v[2:3], v[2:3], v[116:117]
	;; [unrolled: 1-line block ×4, first 2 shown]
	v_fma_f64 v[28:29], v[0:1], -0.5, v[54:55]
	v_add_f64 v[0:1], v[52:53], v[82:83]
	v_add_f64 v[52:53], v[94:95], -v[118:119]
	v_add_f64 v[54:55], v[102:103], -v[110:111]
	v_add_f64 v[8:9], v[2:3], v[12:13]
	v_add_f64 v[12:13], v[2:3], -v[12:13]
	v_add_f64 v[2:3], v[114:115], -v[106:107]
	v_add_f64 v[0:1], v[0:1], v[96:97]
	s_delay_alu instid0(VALU_DEP_1) | instskip(NEXT) | instid1(VALU_DEP_1)
	v_add_f64 v[0:1], v[0:1], v[106:107]
	v_add_f64 v[0:1], v[0:1], v[114:115]
	s_delay_alu instid0(VALU_DEP_1) | instskip(SKIP_2) | instid1(VALU_DEP_1)
	v_add_f64 v[6:7], v[0:1], v[10:11]
	v_add_f64 v[10:11], v[0:1], -v[10:11]
	v_add_f64 v[0:1], v[82:83], -v[96:97]
	v_add_f64 v[36:37], v[0:1], v[2:3]
	v_add_f64 v[0:1], v[92:93], -v[98:99]
	v_add_f64 v[2:3], v[116:117], -v[108:109]
	s_delay_alu instid0(VALU_DEP_1) | instskip(SKIP_2) | instid1(VALU_DEP_1)
	v_add_f64 v[38:39], v[0:1], v[2:3]
	v_add_f64 v[0:1], v[94:95], -v[102:103]
	v_add_f64 v[2:3], v[118:119], -v[110:111]
	v_add_f64 v[40:41], v[0:1], v[2:3]
	v_add_f64 v[0:1], v[80:81], -v[100:101]
	v_add_f64 v[2:3], v[48:49], -v[104:105]
	v_add_f64 v[80:81], v[80:81], v[48:49]
	v_add_f64 v[48:49], v[104:105], -v[48:49]
	s_delay_alu instid0(VALU_DEP_3) | instskip(SKIP_1) | instid1(VALU_DEP_3)
	v_add_f64 v[42:43], v[0:1], v[2:3]
	v_add_f64 v[0:1], v[102:103], v[110:111]
	;; [unrolled: 1-line block ×3, first 2 shown]
	s_delay_alu instid0(VALU_DEP_2) | instskip(SKIP_1) | instid1(VALU_DEP_2)
	v_fma_f64 v[44:45], v[0:1], -0.5, v[68:69]
	v_add_f64 v[0:1], v[100:101], v[104:105]
	v_fma_f64 v[2:3], v[56:57], s[16:17], v[44:45]
	s_delay_alu instid0(VALU_DEP_2) | instskip(SKIP_2) | instid1(VALU_DEP_4)
	v_fma_f64 v[46:47], v[0:1], -0.5, v[50:51]
	v_fma_f64 v[50:51], v[80:81], -0.5, v[50:51]
	v_fma_f64 v[44:45], v[56:57], s[14:15], v[44:45]
	v_fma_f64 v[2:3], v[58:59], s[8:9], v[2:3]
	s_delay_alu instid0(VALU_DEP_4) | instskip(SKIP_1) | instid1(VALU_DEP_4)
	v_fma_f64 v[0:1], v[52:53], s[14:15], v[46:47]
	v_fma_f64 v[46:47], v[52:53], s[16:17], v[46:47]
	;; [unrolled: 1-line block ×3, first 2 shown]
	s_delay_alu instid0(VALU_DEP_4) | instskip(NEXT) | instid1(VALU_DEP_4)
	v_fma_f64 v[2:3], v[40:41], s[12:13], v[2:3]
	v_fma_f64 v[0:1], v[54:55], s[2:3], v[0:1]
	s_delay_alu instid0(VALU_DEP_4) | instskip(NEXT) | instid1(VALU_DEP_2)
	v_fma_f64 v[46:47], v[54:55], s[8:9], v[46:47]
	v_fma_f64 v[0:1], v[42:43], s[12:13], v[0:1]
	s_delay_alu instid0(VALU_DEP_2) | instskip(NEXT) | instid1(VALU_DEP_2)
	v_fma_f64 v[42:43], v[42:43], s[12:13], v[46:47]
	v_mul_f64 v[14:15], v[0:1], s[8:9]
	v_mul_f64 v[0:1], v[0:1], s[22:23]
	s_delay_alu instid0(VALU_DEP_2) | instskip(NEXT) | instid1(VALU_DEP_2)
	v_fma_f64 v[18:19], v[2:3], s[22:23], v[14:15]
	v_fma_f64 v[0:1], v[2:3], s[2:3], v[0:1]
	v_fma_f64 v[2:3], v[60:61], s[16:17], v[4:5]
	v_fma_f64 v[14:15], v[64:65], s[14:15], v[34:35]
	v_fma_f64 v[4:5], v[60:61], s[14:15], v[4:5]
	v_fma_f64 v[34:35], v[64:65], s[16:17], v[34:35]
	s_delay_alu instid0(VALU_DEP_4) | instskip(NEXT) | instid1(VALU_DEP_4)
	v_fma_f64 v[2:3], v[62:63], s[8:9], v[2:3]
	v_fma_f64 v[14:15], v[66:67], s[2:3], v[14:15]
	s_delay_alu instid0(VALU_DEP_4) | instskip(NEXT) | instid1(VALU_DEP_4)
	v_fma_f64 v[4:5], v[62:63], s[2:3], v[4:5]
	v_fma_f64 v[34:35], v[66:67], s[8:9], v[34:35]
	;; [unrolled: 3-line block ×4, first 2 shown]
	v_fma_f64 v[34:35], v[40:41], s[12:13], v[44:45]
	v_mul_f64 v[36:37], v[42:43], s[8:9]
	v_mul_f64 v[38:39], v[42:43], s[20:21]
	v_add_f64 v[14:15], v[2:3], v[18:19]
	v_add_f64 v[16:17], v[20:21], v[0:1]
	v_add_f64 v[18:19], v[2:3], -v[18:19]
	v_add_f64 v[20:21], v[20:21], -v[0:1]
	;; [unrolled: 1-line block ×4, first 2 shown]
	v_add_f64 v[82:83], v[22:23], v[24:25]
	v_fma_f64 v[40:41], v[34:35], s[20:21], v[36:37]
	v_fma_f64 v[42:43], v[34:35], s[2:3], v[38:39]
	s_delay_alu instid0(VALU_DEP_4)
	v_add_f64 v[80:81], v[0:1], v[2:3]
	v_fma_f64 v[0:1], v[54:55], s[16:17], v[50:51]
	v_fma_f64 v[2:3], v[58:59], s[14:15], v[32:33]
	v_add_f64 v[34:35], v[4:5], v[40:41]
	v_add_f64 v[36:37], v[46:47], v[42:43]
	v_add_f64 v[38:39], v[4:5], -v[40:41]
	v_add_f64 v[40:41], v[46:47], -v[42:43]
	v_fma_f64 v[0:1], v[52:53], s[2:3], v[0:1]
	v_fma_f64 v[2:3], v[56:57], s[8:9], v[2:3]
	s_delay_alu instid0(VALU_DEP_2) | instskip(NEXT) | instid1(VALU_DEP_2)
	v_fma_f64 v[0:1], v[48:49], s[12:13], v[0:1]
	v_fma_f64 v[2:3], v[30:31], s[12:13], v[2:3]
	s_delay_alu instid0(VALU_DEP_2) | instskip(SKIP_1) | instid1(VALU_DEP_2)
	v_mul_f64 v[22:23], v[0:1], s[16:17]
	v_mul_f64 v[0:1], v[0:1], s[12:13]
	v_fma_f64 v[22:23], v[2:3], s[12:13], v[22:23]
	s_delay_alu instid0(VALU_DEP_2) | instskip(SKIP_3) | instid1(VALU_DEP_3)
	v_fma_f64 v[24:25], v[2:3], s[14:15], v[0:1]
	v_fma_f64 v[0:1], v[62:63], s[14:15], v[26:27]
	;; [unrolled: 1-line block ×5, first 2 shown]
	s_delay_alu instid0(VALU_DEP_3) | instskip(NEXT) | instid1(VALU_DEP_3)
	v_fma_f64 v[26:27], v[60:61], s[2:3], v[26:27]
	v_fma_f64 v[2:3], v[64:65], s[2:3], v[2:3]
	s_delay_alu instid0(VALU_DEP_3) | instskip(NEXT) | instid1(VALU_DEP_2)
	v_fma_f64 v[68:69], v[80:81], s[12:13], v[0:1]
	v_fma_f64 v[74:75], v[82:83], s[12:13], v[2:3]
	s_delay_alu instid0(VALU_DEP_2)
	v_add_f64 v[0:1], v[68:69], v[22:23]
	v_add_f64 v[22:23], v[68:69], -v[22:23]
	v_fma_f64 v[68:69], v[80:81], s[12:13], v[26:27]
	v_fma_f64 v[26:27], v[66:67], s[14:15], v[28:29]
	v_add_f64 v[2:3], v[74:75], v[24:25]
	v_add_f64 v[24:25], v[74:75], -v[24:25]
	v_fma_f64 v[28:29], v[58:59], s[16:17], v[32:33]
	s_delay_alu instid0(VALU_DEP_4) | instskip(NEXT) | instid1(VALU_DEP_2)
	v_fma_f64 v[26:27], v[64:65], s[8:9], v[26:27]
	v_fma_f64 v[28:29], v[56:57], s[2:3], v[28:29]
	s_delay_alu instid0(VALU_DEP_2) | instskip(SKIP_1) | instid1(VALU_DEP_3)
	v_fma_f64 v[74:75], v[82:83], s[12:13], v[26:27]
	v_fma_f64 v[26:27], v[54:55], s[14:15], v[50:51]
	;; [unrolled: 1-line block ×3, first 2 shown]
	s_delay_alu instid0(VALU_DEP_2) | instskip(NEXT) | instid1(VALU_DEP_1)
	v_fma_f64 v[26:27], v[52:53], s[8:9], v[26:27]
	v_fma_f64 v[26:27], v[48:49], s[12:13], v[26:27]
	s_delay_alu instid0(VALU_DEP_1) | instskip(SKIP_1) | instid1(VALU_DEP_2)
	v_mul_f64 v[30:31], v[26:27], s[16:17]
	v_mul_f64 v[26:27], v[26:27], s[18:19]
	v_fma_f64 v[30:31], v[28:29], s[18:19], v[30:31]
	s_delay_alu instid0(VALU_DEP_2) | instskip(NEXT) | instid1(VALU_DEP_2)
	v_fma_f64 v[32:33], v[28:29], s[14:15], v[26:27]
	v_add_f64 v[26:27], v[68:69], v[30:31]
	s_delay_alu instid0(VALU_DEP_2)
	v_add_f64 v[28:29], v[74:75], v[32:33]
	v_add_f64 v[30:31], v[68:69], -v[30:31]
	v_add_f64 v[32:33], v[74:75], -v[32:33]
	ds_store_b128 v78, v[6:9]
	ds_store_b128 v78, v[14:17] offset:160
	ds_store_b128 v78, v[0:3] offset:320
	;; [unrolled: 1-line block ×9, first 2 shown]
	s_waitcnt lgkmcnt(0)
	s_barrier
	buffer_gl0_inv
	s_clause 0x1
	scratch_load_b128 v[6:9], off, off offset:520
	scratch_load_b128 v[38:41], off, off offset:536
	ds_load_b128 v[0:3], v143 offset:6400
	ds_load_b128 v[34:37], v143 offset:60800
	ds_load_b128 v[20:23], v143 offset:22400
	s_waitcnt vmcnt(1) lgkmcnt(2)
	v_mul_f64 v[4:5], v[8:9], v[2:3]
	s_delay_alu instid0(VALU_DEP_1) | instskip(SKIP_1) | instid1(VALU_DEP_1)
	v_fma_f64 v[82:83], v[6:7], v[0:1], v[4:5]
	v_mul_f64 v[0:1], v[8:9], v[0:1]
	v_fma_f64 v[92:93], v[6:7], v[2:3], -v[0:1]
	ds_load_b128 v[0:3], v143 offset:12800
	s_waitcnt lgkmcnt(0)
	v_mul_f64 v[4:5], v[226:227], v[2:3]
	s_delay_alu instid0(VALU_DEP_1) | instskip(SKIP_1) | instid1(VALU_DEP_1)
	v_fma_f64 v[94:95], v[224:225], v[0:1], v[4:5]
	v_mul_f64 v[0:1], v[226:227], v[0:1]
	v_fma_f64 v[96:97], v[224:225], v[2:3], -v[0:1]
	ds_load_b128 v[0:3], v143 offset:19200
	s_waitcnt lgkmcnt(0)
	;; [unrolled: 7-line block ×5, first 2 shown]
	v_mul_f64 v[0:1], v[238:239], v[4:5]
	v_add_f64 v[61:62], v[108:109], -v[100:101]
	s_delay_alu instid0(VALU_DEP_2) | instskip(SKIP_1) | instid1(VALU_DEP_1)
	v_fma_f64 v[0:1], v[236:237], v[2:3], v[0:1]
	v_mul_f64 v[2:3], v[238:239], v[2:3]
	v_fma_f64 v[114:115], v[236:237], v[4:5], -v[2:3]
	ds_load_b128 v[2:5], v143 offset:44800
	s_waitcnt lgkmcnt(0)
	v_mul_f64 v[6:7], v[242:243], v[4:5]
	v_add_f64 v[150:151], v[104:105], -v[114:115]
	s_delay_alu instid0(VALU_DEP_2) | instskip(SKIP_1) | instid1(VALU_DEP_1)
	v_fma_f64 v[110:111], v[240:241], v[2:3], v[6:7]
	v_mul_f64 v[2:3], v[242:243], v[2:3]
	v_fma_f64 v[116:117], v[240:241], v[4:5], -v[2:3]
	ds_load_b128 v[2:5], v143 offset:51200
	s_waitcnt lgkmcnt(0)
	v_mul_f64 v[6:7], v[246:247], v[4:5]
	s_delay_alu instid0(VALU_DEP_1) | instskip(SKIP_1) | instid1(VALU_DEP_1)
	v_fma_f64 v[120:121], v[244:245], v[2:3], v[6:7]
	v_mul_f64 v[2:3], v[246:247], v[2:3]
	v_fma_f64 v[122:123], v[244:245], v[4:5], -v[2:3]
	ds_load_b128 v[2:5], v143 offset:57600
	s_waitcnt lgkmcnt(0)
	v_mul_f64 v[6:7], v[250:251], v[4:5]
	v_add_f64 v[148:149], v[96:97], -v[122:123]
	v_add_f64 v[59:60], v[114:115], -v[122:123]
	s_delay_alu instid0(VALU_DEP_3) | instskip(SKIP_1) | instid1(VALU_DEP_1)
	v_fma_f64 v[118:119], v[248:249], v[2:3], v[6:7]
	v_mul_f64 v[2:3], v[250:251], v[2:3]
	v_fma_f64 v[132:133], v[248:249], v[4:5], -v[2:3]
	ds_load_b128 v[2:5], v143 offset:9600
	s_waitcnt lgkmcnt(0)
	v_mul_f64 v[6:7], v[210:211], v[4:5]
	v_add_f64 v[65:66], v[100:101], v[132:133]
	v_add_f64 v[67:68], v[116:117], -v[132:133]
	s_delay_alu instid0(VALU_DEP_3) | instskip(SKIP_1) | instid1(VALU_DEP_4)
	v_fma_f64 v[32:33], v[208:209], v[2:3], v[6:7]
	v_mul_f64 v[2:3], v[210:211], v[2:3]
	v_fma_f64 v[65:66], v[65:66], -0.5, v[92:93]
	s_delay_alu instid0(VALU_DEP_4) | instskip(NEXT) | instid1(VALU_DEP_3)
	v_add_f64 v[67:68], v[61:62], v[67:68]
	v_fma_f64 v[2:3], v[208:209], v[4:5], -v[2:3]
	ds_load_b128 v[4:7], v143 offset:16000
	s_waitcnt lgkmcnt(0)
	v_mul_f64 v[8:9], v[146:147], v[6:7]
	s_delay_alu instid0(VALU_DEP_1) | instskip(SKIP_2) | instid1(VALU_DEP_2)
	v_fma_f64 v[24:25], v[144:145], v[4:5], v[8:9]
	v_mul_f64 v[4:5], v[146:147], v[4:5]
	v_add_f64 v[146:147], v[108:109], -v[116:117]
	v_fma_f64 v[12:13], v[144:145], v[6:7], -v[4:5]
	ds_load_b128 v[4:7], v143 offset:28800
	v_add_f64 v[144:145], v[100:101], -v[132:133]
	s_waitcnt lgkmcnt(0)
	v_mul_f64 v[8:9], v[154:155], v[6:7]
	s_delay_alu instid0(VALU_DEP_1) | instskip(SKIP_2) | instid1(VALU_DEP_2)
	v_fma_f64 v[14:15], v[152:153], v[4:5], v[8:9]
	v_mul_f64 v[4:5], v[154:155], v[4:5]
	v_add_f64 v[154:155], v[102:103], -v[0:1]
	v_fma_f64 v[16:17], v[152:153], v[6:7], -v[4:5]
	ds_load_b128 v[4:7], v143 offset:41600
	v_add_f64 v[152:153], v[94:95], -v[120:121]
	s_waitcnt lgkmcnt(0)
	v_mul_f64 v[8:9], v[141:142], v[6:7]
	s_delay_alu instid0(VALU_DEP_1) | instskip(SKIP_1) | instid1(VALU_DEP_1)
	v_fma_f64 v[18:19], v[139:140], v[4:5], v[8:9]
	v_mul_f64 v[4:5], v[141:142], v[4:5]
	v_fma_f64 v[8:9], v[139:140], v[6:7], -v[4:5]
	ds_load_b128 v[4:7], v143 offset:54400
	v_add_f64 v[138:139], v[98:99], -v[118:119]
	v_add_f64 v[140:141], v[106:107], -v[110:111]
	s_waitcnt lgkmcnt(0)
	v_mul_f64 v[10:11], v[72:73], v[6:7]
	s_delay_alu instid0(VALU_DEP_1) | instskip(SKIP_1) | instid1(VALU_DEP_1)
	v_fma_f64 v[10:11], v[70:71], v[4:5], v[10:11]
	v_mul_f64 v[4:5], v[72:73], v[4:5]
	v_fma_f64 v[4:5], v[70:71], v[6:7], -v[4:5]
	v_mul_f64 v[6:7], v[254:255], v[22:23]
	v_add_f64 v[69:70], v[106:107], -v[98:99]
	s_delay_alu instid0(VALU_DEP_2) | instskip(SKIP_1) | instid1(VALU_DEP_1)
	v_fma_f64 v[6:7], v[252:253], v[20:21], v[6:7]
	v_mul_f64 v[20:21], v[254:255], v[20:21]
	v_fma_f64 v[26:27], v[252:253], v[22:23], -v[20:21]
	ds_load_b128 v[20:23], v143 offset:35200
	s_waitcnt lgkmcnt(0)
	v_mul_f64 v[28:29], v[158:159], v[22:23]
	s_delay_alu instid0(VALU_DEP_1)
	v_fma_f64 v[80:81], v[156:157], v[20:21], v[28:29]
	v_mul_f64 v[20:21], v[158:159], v[20:21]
	ds_load_b128 v[28:31], v143 offset:48000
	v_fma_f64 v[20:21], v[156:157], v[22:23], -v[20:21]
	s_waitcnt lgkmcnt(0)
	v_mul_f64 v[22:23], v[218:219], v[30:31]
	s_delay_alu instid0(VALU_DEP_1) | instskip(SKIP_1) | instid1(VALU_DEP_1)
	v_fma_f64 v[22:23], v[216:217], v[28:29], v[22:23]
	v_mul_f64 v[28:29], v[218:219], v[28:29]
	v_fma_f64 v[28:29], v[216:217], v[30:31], -v[28:29]
	s_waitcnt vmcnt(0)
	v_mul_f64 v[30:31], v[40:41], v[36:37]
	s_delay_alu instid0(VALU_DEP_1) | instskip(SKIP_2) | instid1(VALU_DEP_2)
	v_fma_f64 v[30:31], v[38:39], v[34:35], v[30:31]
	v_mul_f64 v[34:35], v[40:41], v[34:35]
	v_add_f64 v[40:41], v[92:93], v[100:101]
	v_fma_f64 v[134:135], v[38:39], v[36:37], -v[34:35]
	v_add_f64 v[38:39], v[102:103], v[0:1]
	ds_load_b128 v[34:37], v143
	v_add_f64 v[40:41], v[40:41], v[108:109]
	s_waitcnt lgkmcnt(0)
	v_fma_f64 v[46:47], v[38:39], -0.5, v[34:35]
	v_add_f64 v[38:39], v[94:95], v[120:121]
	s_delay_alu instid0(VALU_DEP_3) | instskip(NEXT) | instid1(VALU_DEP_2)
	v_add_f64 v[40:41], v[40:41], v[116:117]
	v_fma_f64 v[48:49], v[38:39], -0.5, v[34:35]
	v_add_f64 v[38:39], v[104:105], v[114:115]
	v_add_f64 v[34:35], v[34:35], v[94:95]
	s_delay_alu instid0(VALU_DEP_4) | instskip(NEXT) | instid1(VALU_DEP_3)
	v_add_f64 v[40:41], v[40:41], v[132:133]
	v_fma_f64 v[71:72], v[38:39], -0.5, v[36:37]
	v_add_f64 v[38:39], v[96:97], v[122:123]
	s_delay_alu instid0(VALU_DEP_4) | instskip(NEXT) | instid1(VALU_DEP_2)
	v_add_f64 v[34:35], v[34:35], v[102:103]
	v_fma_f64 v[63:64], v[38:39], -0.5, v[36:37]
	v_add_f64 v[36:37], v[36:37], v[96:97]
	v_add_f64 v[38:39], v[82:83], v[98:99]
	s_delay_alu instid0(VALU_DEP_4) | instskip(NEXT) | instid1(VALU_DEP_3)
	v_add_f64 v[34:35], v[34:35], v[0:1]
	v_add_f64 v[36:37], v[36:37], v[104:105]
	s_delay_alu instid0(VALU_DEP_3) | instskip(NEXT) | instid1(VALU_DEP_3)
	v_add_f64 v[38:39], v[38:39], v[106:107]
	v_add_f64 v[42:43], v[34:35], v[120:121]
	s_delay_alu instid0(VALU_DEP_3) | instskip(NEXT) | instid1(VALU_DEP_3)
	v_add_f64 v[36:37], v[36:37], v[114:115]
	v_add_f64 v[38:39], v[38:39], v[110:111]
	s_delay_alu instid0(VALU_DEP_2) | instskip(NEXT) | instid1(VALU_DEP_2)
	v_add_f64 v[44:45], v[36:37], v[122:123]
	v_add_f64 v[38:39], v[38:39], v[118:119]
	s_delay_alu instid0(VALU_DEP_2) | instskip(NEXT) | instid1(VALU_DEP_2)
	v_add_f64 v[36:37], v[44:45], v[40:41]
	v_add_f64 v[34:35], v[42:43], v[38:39]
	v_add_f64 v[38:39], v[42:43], -v[38:39]
	v_add_f64 v[40:41], v[44:45], -v[40:41]
	;; [unrolled: 1-line block ×5, first 2 shown]
	s_delay_alu instid0(VALU_DEP_2) | instskip(SKIP_2) | instid1(VALU_DEP_1)
	v_add_f64 v[73:74], v[42:43], v[44:45]
	v_add_f64 v[42:43], v[96:97], -v[104:105]
	v_add_f64 v[44:45], v[122:123], -v[114:115]
	v_add_f64 v[75:76], v[42:43], v[44:45]
	v_add_f64 v[42:43], v[98:99], -v[106:107]
	v_add_f64 v[44:45], v[118:119], -v[110:111]
	s_delay_alu instid0(VALU_DEP_1) | instskip(SKIP_2) | instid1(VALU_DEP_1)
	v_add_f64 v[77:78], v[42:43], v[44:45]
	v_add_f64 v[42:43], v[100:101], -v[108:109]
	v_add_f64 v[44:45], v[132:133], -v[116:117]
	v_add_f64 v[85:86], v[42:43], v[44:45]
	v_add_f64 v[42:43], v[106:107], v[110:111]
	s_delay_alu instid0(VALU_DEP_1) | instskip(SKIP_1) | instid1(VALU_DEP_2)
	v_fma_f64 v[112:113], v[42:43], -0.5, v[82:83]
	v_add_f64 v[42:43], v[108:109], v[116:117]
	v_fma_f64 v[44:45], v[144:145], s[16:17], v[112:113]
	s_delay_alu instid0(VALU_DEP_2) | instskip(NEXT) | instid1(VALU_DEP_2)
	v_fma_f64 v[136:137], v[42:43], -0.5, v[92:93]
	v_fma_f64 v[44:45], v[146:147], s[8:9], v[44:45]
	s_delay_alu instid0(VALU_DEP_2) | instskip(NEXT) | instid1(VALU_DEP_2)
	v_fma_f64 v[42:43], v[138:139], s[14:15], v[136:137]
	v_fma_f64 v[44:45], v[77:78], s[12:13], v[44:45]
	s_delay_alu instid0(VALU_DEP_2) | instskip(NEXT) | instid1(VALU_DEP_1)
	v_fma_f64 v[42:43], v[140:141], s[2:3], v[42:43]
	v_fma_f64 v[42:43], v[85:86], s[12:13], v[42:43]
	s_delay_alu instid0(VALU_DEP_1) | instskip(SKIP_1) | instid1(VALU_DEP_2)
	v_mul_f64 v[50:51], v[42:43], s[8:9]
	v_mul_f64 v[42:43], v[42:43], s[22:23]
	v_fma_f64 v[50:51], v[44:45], s[22:23], v[50:51]
	s_delay_alu instid0(VALU_DEP_2) | instskip(SKIP_4) | instid1(VALU_DEP_4)
	v_fma_f64 v[53:54], v[44:45], s[2:3], v[42:43]
	v_fma_f64 v[42:43], v[148:149], s[16:17], v[46:47]
	;; [unrolled: 1-line block ×6, first 2 shown]
	s_delay_alu instid0(VALU_DEP_4) | instskip(NEXT) | instid1(VALU_DEP_4)
	v_fma_f64 v[44:45], v[154:155], s[2:3], v[44:45]
	v_fma_f64 v[71:72], v[154:155], s[8:9], v[71:72]
	s_delay_alu instid0(VALU_DEP_4) | instskip(NEXT) | instid1(VALU_DEP_4)
	v_fma_f64 v[46:47], v[150:151], s[2:3], v[46:47]
	v_fma_f64 v[55:56], v[73:74], s[12:13], v[42:43]
	s_delay_alu instid0(VALU_DEP_4) | instskip(NEXT) | instid1(VALU_DEP_3)
	v_fma_f64 v[57:58], v[75:76], s[12:13], v[44:45]
	v_fma_f64 v[46:47], v[73:74], s[12:13], v[46:47]
	s_delay_alu instid0(VALU_DEP_3) | instskip(NEXT) | instid1(VALU_DEP_3)
	v_add_f64 v[42:43], v[55:56], v[50:51]
	v_add_f64 v[44:45], v[57:58], v[53:54]
	v_add_f64 v[51:52], v[55:56], -v[50:51]
	v_add_f64 v[53:54], v[57:58], -v[53:54]
	v_add_f64 v[55:56], v[102:103], -v[94:95]
	v_add_f64 v[57:58], v[104:105], -v[96:97]
	v_add_f64 v[96:97], v[98:99], v[118:119]
	v_add_f64 v[94:95], v[110:111], -v[118:119]
	s_delay_alu instid0(VALU_DEP_4) | instskip(SKIP_1) | instid1(VALU_DEP_4)
	v_add_f64 v[0:1], v[55:56], v[0:1]
	v_fma_f64 v[55:56], v[140:141], s[16:17], v[65:66]
	v_fma_f64 v[82:83], v[96:97], -0.5, v[82:83]
	v_add_f64 v[92:93], v[57:58], v[59:60]
	v_add_f64 v[69:70], v[69:70], v[94:95]
	v_fma_f64 v[65:66], v[140:141], s[14:15], v[65:66]
	v_fma_f64 v[55:56], v[138:139], s[2:3], v[55:56]
	v_fma_f64 v[57:58], v[146:147], s[14:15], v[82:83]
	s_delay_alu instid0(VALU_DEP_3) | instskip(NEXT) | instid1(VALU_DEP_3)
	v_fma_f64 v[65:66], v[138:139], s[8:9], v[65:66]
	v_fma_f64 v[55:56], v[67:68], s[12:13], v[55:56]
	s_delay_alu instid0(VALU_DEP_3) | instskip(NEXT) | instid1(VALU_DEP_3)
	v_fma_f64 v[57:58], v[144:145], s[8:9], v[57:58]
	v_fma_f64 v[65:66], v[67:68], s[12:13], v[65:66]
	;; [unrolled: 1-line block ×3, first 2 shown]
	s_delay_alu instid0(VALU_DEP_4) | instskip(NEXT) | instid1(VALU_DEP_4)
	v_mul_f64 v[59:60], v[55:56], s[16:17]
	v_fma_f64 v[57:58], v[69:70], s[12:13], v[57:58]
	v_mul_f64 v[55:56], v[55:56], s[12:13]
	s_delay_alu instid0(VALU_DEP_4) | instskip(NEXT) | instid1(VALU_DEP_3)
	v_fma_f64 v[67:68], v[144:145], s[2:3], v[67:68]
	v_fma_f64 v[59:60], v[57:58], s[12:13], v[59:60]
	s_delay_alu instid0(VALU_DEP_3) | instskip(SKIP_4) | instid1(VALU_DEP_4)
	v_fma_f64 v[61:62], v[57:58], s[14:15], v[55:56]
	v_fma_f64 v[55:56], v[150:151], s[14:15], v[48:49]
	;; [unrolled: 1-line block ×6, first 2 shown]
	s_delay_alu instid0(VALU_DEP_4) | instskip(NEXT) | instid1(VALU_DEP_4)
	v_fma_f64 v[48:49], v[148:149], s[2:3], v[48:49]
	v_fma_f64 v[57:58], v[152:153], s[2:3], v[57:58]
	s_delay_alu instid0(VALU_DEP_3) | instskip(NEXT) | instid1(VALU_DEP_3)
	v_fma_f64 v[94:95], v[0:1], s[12:13], v[55:56]
	v_fma_f64 v[0:1], v[0:1], s[12:13], v[48:49]
	;; [unrolled: 1-line block ×3, first 2 shown]
	v_mul_f64 v[63:64], v[65:66], s[16:17]
	v_mul_f64 v[65:66], v[65:66], s[18:19]
	v_fma_f64 v[96:97], v[92:93], s[12:13], v[57:58]
	v_add_f64 v[55:56], v[94:95], v[59:60]
	v_add_f64 v[59:60], v[94:95], -v[59:60]
	v_fma_f64 v[48:49], v[152:153], s[8:9], v[48:49]
	v_fma_f64 v[69:70], v[67:68], s[18:19], v[63:64]
	;; [unrolled: 1-line block ×3, first 2 shown]
	v_add_f64 v[57:58], v[96:97], v[61:62]
	v_add_f64 v[61:62], v[96:97], -v[61:62]
	v_fma_f64 v[48:49], v[92:93], s[12:13], v[48:49]
	v_add_f64 v[63:64], v[0:1], v[69:70]
	v_add_f64 v[67:68], v[0:1], -v[69:70]
	v_fma_f64 v[0:1], v[138:139], s[16:17], v[136:137]
	ds_load_b128 v[92:95], v143 offset:3200
	s_waitcnt lgkmcnt(0)
	s_barrier
	buffer_gl0_inv
	v_add_f64 v[65:66], v[48:49], v[82:83]
	v_add_f64 v[69:70], v[48:49], -v[82:83]
	v_fma_f64 v[48:49], v[144:145], s[14:15], v[112:113]
	v_fma_f64 v[0:1], v[140:141], s[8:9], v[0:1]
	v_add_f64 v[82:83], v[16:17], -v[8:9]
	s_delay_alu instid0(VALU_DEP_3) | instskip(NEXT) | instid1(VALU_DEP_3)
	v_fma_f64 v[48:49], v[146:147], s[2:3], v[48:49]
	v_fma_f64 v[0:1], v[85:86], s[12:13], v[0:1]
	v_add_f64 v[85:86], v[24:25], -v[10:11]
	s_delay_alu instid0(VALU_DEP_3) | instskip(SKIP_1) | instid1(VALU_DEP_4)
	v_fma_f64 v[48:49], v[77:78], s[12:13], v[48:49]
	v_fma_f64 v[77:78], v[75:76], s[12:13], v[71:72]
	v_mul_f64 v[71:72], v[0:1], s[8:9]
	v_mul_f64 v[0:1], v[0:1], s[20:21]
	s_delay_alu instid0(VALU_DEP_2) | instskip(NEXT) | instid1(VALU_DEP_2)
	v_fma_f64 v[75:76], v[48:49], s[20:21], v[71:72]
	v_fma_f64 v[0:1], v[48:49], s[2:3], v[0:1]
	s_delay_alu instid0(VALU_DEP_2) | instskip(NEXT) | instid1(VALU_DEP_2)
	v_add_f64 v[71:72], v[46:47], v[75:76]
	v_add_f64 v[73:74], v[77:78], v[0:1]
	v_add_f64 v[77:78], v[77:78], -v[0:1]
	v_add_f64 v[0:1], v[14:15], v[18:19]
	v_add_f64 v[75:76], v[46:47], -v[75:76]
	ds_store_b128 v79, v[34:37]
	ds_store_b128 v79, v[38:41] offset:8000
	ds_store_b128 v79, v[42:45] offset:1600
	;; [unrolled: 1-line block ×9, first 2 shown]
	v_add_f64 v[36:37], v[32:33], v[6:7]
	v_add_f64 v[34:35], v[94:95], v[12:13]
	;; [unrolled: 1-line block ×3, first 2 shown]
	v_add_f64 v[70:71], v[6:7], -v[30:31]
	v_add_f64 v[72:73], v[80:81], -v[22:23]
	;; [unrolled: 1-line block ×3, first 2 shown]
	v_fma_f64 v[46:47], v[0:1], -0.5, v[92:93]
	v_add_f64 v[0:1], v[24:25], v[10:11]
	v_add_f64 v[76:77], v[20:21], -v[28:29]
	v_add_f64 v[78:79], v[12:13], -v[4:5]
	v_add_f64 v[36:37], v[36:37], v[80:81]
	v_add_f64 v[34:35], v[34:35], v[16:17]
	;; [unrolled: 1-line block ×3, first 2 shown]
	v_fma_f64 v[48:49], v[0:1], -0.5, v[92:93]
	v_add_f64 v[0:1], v[16:17], v[8:9]
	v_add_f64 v[36:37], v[36:37], v[22:23]
	;; [unrolled: 1-line block ×4, first 2 shown]
	s_delay_alu instid0(VALU_DEP_4) | instskip(SKIP_4) | instid1(VALU_DEP_4)
	v_fma_f64 v[54:55], v[0:1], -0.5, v[94:95]
	v_add_f64 v[0:1], v[12:13], v[4:5]
	v_add_f64 v[42:43], v[36:37], v[30:31]
	;; [unrolled: 1-line block ×4, first 2 shown]
	v_fma_f64 v[56:57], v[0:1], -0.5, v[94:95]
	v_add_f64 v[0:1], v[92:93], v[24:25]
	v_add_f64 v[92:93], v[14:15], -v[18:19]
	s_delay_alu instid0(VALU_DEP_4) | instskip(SKIP_1) | instid1(VALU_DEP_4)
	v_add_f64 v[36:37], v[40:41], v[44:45]
	v_add_f64 v[40:41], v[40:41], -v[44:45]
	v_add_f64 v[0:1], v[0:1], v[14:15]
	s_delay_alu instid0(VALU_DEP_1) | instskip(NEXT) | instid1(VALU_DEP_1)
	v_add_f64 v[0:1], v[0:1], v[18:19]
	v_add_f64 v[0:1], v[0:1], v[10:11]
	s_delay_alu instid0(VALU_DEP_1)
	v_add_f64 v[34:35], v[0:1], v[42:43]
	v_add_f64 v[38:39], v[0:1], -v[42:43]
	v_add_f64 v[0:1], v[24:25], -v[14:15]
	;; [unrolled: 1-line block ×5, first 2 shown]
	s_delay_alu instid0(VALU_DEP_3)
	v_add_f64 v[58:59], v[0:1], v[42:43]
	v_add_f64 v[0:1], v[12:13], -v[16:17]
	v_add_f64 v[42:43], v[4:5], -v[8:9]
	;; [unrolled: 1-line block ×6, first 2 shown]
	v_add_f64 v[60:61], v[0:1], v[42:43]
	v_add_f64 v[0:1], v[6:7], -v[80:81]
	v_add_f64 v[42:43], v[30:31], -v[22:23]
	v_add_f64 v[6:7], v[6:7], v[30:31]
	v_add_f64 v[8:9], v[8:9], v[16:17]
	;; [unrolled: 1-line block ×3, first 2 shown]
	s_delay_alu instid0(VALU_DEP_4) | instskip(SKIP_3) | instid1(VALU_DEP_2)
	v_add_f64 v[62:63], v[0:1], v[42:43]
	v_add_f64 v[0:1], v[26:27], -v[20:21]
	v_add_f64 v[42:43], v[134:135], -v[28:29]
	v_fma_f64 v[16:17], v[6:7], -0.5, v[32:33]
	v_add_f64 v[64:65], v[0:1], v[42:43]
	v_add_f64 v[0:1], v[80:81], v[22:23]
	s_delay_alu instid0(VALU_DEP_1) | instskip(SKIP_2) | instid1(VALU_DEP_3)
	v_fma_f64 v[66:67], v[0:1], -0.5, v[32:33]
	v_add_f64 v[0:1], v[20:21], v[28:29]
	v_add_f64 v[20:21], v[22:23], -v[30:31]
	v_fma_f64 v[42:43], v[74:75], s[16:17], v[66:67]
	s_delay_alu instid0(VALU_DEP_3) | instskip(NEXT) | instid1(VALU_DEP_3)
	v_fma_f64 v[68:69], v[0:1], -0.5, v[2:3]
	v_add_f64 v[18:19], v[18:19], v[20:21]
	s_delay_alu instid0(VALU_DEP_3) | instskip(NEXT) | instid1(VALU_DEP_3)
	v_fma_f64 v[42:43], v[76:77], s[8:9], v[42:43]
	v_fma_f64 v[0:1], v[70:71], s[14:15], v[68:69]
	s_delay_alu instid0(VALU_DEP_2) | instskip(NEXT) | instid1(VALU_DEP_2)
	v_fma_f64 v[42:43], v[62:63], s[12:13], v[42:43]
	v_fma_f64 v[0:1], v[72:73], s[2:3], v[0:1]
	s_delay_alu instid0(VALU_DEP_1) | instskip(NEXT) | instid1(VALU_DEP_1)
	v_fma_f64 v[0:1], v[64:65], s[12:13], v[0:1]
	v_mul_f64 v[44:45], v[0:1], s[8:9]
	v_mul_f64 v[0:1], v[0:1], s[22:23]
	s_delay_alu instid0(VALU_DEP_2) | instskip(NEXT) | instid1(VALU_DEP_2)
	v_fma_f64 v[50:51], v[42:43], s[22:23], v[44:45]
	v_fma_f64 v[0:1], v[42:43], s[2:3], v[0:1]
	v_fma_f64 v[42:43], v[78:79], s[16:17], v[46:47]
	v_fma_f64 v[44:45], v[85:86], s[14:15], v[54:55]
	s_delay_alu instid0(VALU_DEP_2) | instskip(NEXT) | instid1(VALU_DEP_2)
	v_fma_f64 v[42:43], v[82:83], s[8:9], v[42:43]
	v_fma_f64 v[44:45], v[92:93], s[2:3], v[44:45]
	s_delay_alu instid0(VALU_DEP_2) | instskip(NEXT) | instid1(VALU_DEP_2)
	v_fma_f64 v[52:53], v[58:59], s[12:13], v[42:43]
	v_fma_f64 v[94:95], v[60:61], s[12:13], v[44:45]
	s_delay_alu instid0(VALU_DEP_2) | instskip(NEXT) | instid1(VALU_DEP_2)
	v_add_f64 v[42:43], v[52:53], v[50:51]
	v_add_f64 v[44:45], v[94:95], v[0:1]
	v_add_f64 v[50:51], v[52:53], -v[50:51]
	v_add_f64 v[52:53], v[94:95], -v[0:1]
	;; [unrolled: 1-line block ×3, first 2 shown]
	v_add_f64 v[14:15], v[26:27], v[134:135]
	s_delay_alu instid0(VALU_DEP_2) | instskip(NEXT) | instid1(VALU_DEP_2)
	v_add_f64 v[10:11], v[0:1], v[10:11]
	v_fma_f64 v[14:15], v[14:15], -0.5, v[2:3]
	v_fma_f64 v[2:3], v[76:77], s[14:15], v[16:17]
	s_delay_alu instid0(VALU_DEP_2) | instskip(NEXT) | instid1(VALU_DEP_2)
	v_fma_f64 v[0:1], v[72:73], s[16:17], v[14:15]
	v_fma_f64 v[2:3], v[74:75], s[8:9], v[2:3]
	;; [unrolled: 1-line block ×3, first 2 shown]
	s_delay_alu instid0(VALU_DEP_3) | instskip(NEXT) | instid1(VALU_DEP_3)
	v_fma_f64 v[0:1], v[70:71], s[2:3], v[0:1]
	v_fma_f64 v[2:3], v[18:19], s[12:13], v[2:3]
	s_delay_alu instid0(VALU_DEP_3) | instskip(NEXT) | instid1(VALU_DEP_3)
	v_fma_f64 v[14:15], v[70:71], s[8:9], v[14:15]
	v_fma_f64 v[0:1], v[8:9], s[12:13], v[0:1]
	s_delay_alu instid0(VALU_DEP_2) | instskip(SKIP_2) | instid1(VALU_DEP_4)
	v_fma_f64 v[8:9], v[8:9], s[12:13], v[14:15]
	v_fma_f64 v[14:15], v[76:77], s[16:17], v[16:17]
	;; [unrolled: 1-line block ×3, first 2 shown]
	v_mul_f64 v[4:5], v[0:1], s[16:17]
	v_mul_f64 v[0:1], v[0:1], s[12:13]
	s_delay_alu instid0(VALU_DEP_4) | instskip(NEXT) | instid1(VALU_DEP_4)
	v_fma_f64 v[14:15], v[74:75], s[2:3], v[14:15]
	v_fma_f64 v[16:17], v[78:79], s[2:3], v[16:17]
	s_delay_alu instid0(VALU_DEP_4) | instskip(NEXT) | instid1(VALU_DEP_4)
	v_fma_f64 v[4:5], v[2:3], s[12:13], v[4:5]
	v_fma_f64 v[6:7], v[2:3], s[14:15], v[0:1]
	;; [unrolled: 1-line block ×6, first 2 shown]
	s_delay_alu instid0(VALU_DEP_4) | instskip(NEXT) | instid1(VALU_DEP_4)
	v_fma_f64 v[0:1], v[78:79], s[8:9], v[0:1]
	v_fma_f64 v[2:3], v[85:86], s[2:3], v[2:3]
	s_delay_alu instid0(VALU_DEP_2) | instskip(SKIP_1) | instid1(VALU_DEP_3)
	v_fma_f64 v[20:21], v[10:11], s[12:13], v[0:1]
	v_fma_f64 v[10:11], v[92:93], s[14:15], v[56:57]
	;; [unrolled: 1-line block ×3, first 2 shown]
	s_delay_alu instid0(VALU_DEP_3) | instskip(NEXT) | instid1(VALU_DEP_3)
	v_add_f64 v[0:1], v[20:21], v[4:5]
	v_fma_f64 v[10:11], v[85:86], s[8:9], v[10:11]
	s_delay_alu instid0(VALU_DEP_3)
	v_add_f64 v[2:3], v[22:23], v[6:7]
	v_add_f64 v[4:5], v[20:21], -v[4:5]
	v_add_f64 v[6:7], v[22:23], -v[6:7]
	v_fma_f64 v[20:21], v[78:79], s[14:15], v[46:47]
	v_fma_f64 v[22:23], v[85:86], s[16:17], v[54:55]
	v_mov_b32_e32 v86, v87
	v_fma_f64 v[18:19], v[12:13], s[12:13], v[10:11]
	v_mul_f64 v[10:11], v[8:9], s[16:17]
	v_mul_f64 v[8:9], v[8:9], s[18:19]
	v_fma_f64 v[20:21], v[82:83], s[2:3], v[20:21]
	v_fma_f64 v[22:23], v[92:93], s[8:9], v[22:23]
	s_delay_alu instid0(VALU_DEP_4) | instskip(NEXT) | instid1(VALU_DEP_4)
	v_fma_f64 v[12:13], v[14:15], s[18:19], v[10:11]
	v_fma_f64 v[14:15], v[14:15], s[14:15], v[8:9]
	s_delay_alu instid0(VALU_DEP_4) | instskip(NEXT) | instid1(VALU_DEP_4)
	v_fma_f64 v[20:21], v[58:59], s[12:13], v[20:21]
	v_fma_f64 v[22:23], v[60:61], s[12:13], v[22:23]
	s_delay_alu instid0(VALU_DEP_4)
	v_add_f64 v[8:9], v[16:17], v[12:13]
	v_add_f64 v[12:13], v[16:17], -v[12:13]
	v_fma_f64 v[16:17], v[70:71], s[16:17], v[68:69]
	v_add_f64 v[10:11], v[18:19], v[14:15]
	v_add_f64 v[14:15], v[18:19], -v[14:15]
	v_fma_f64 v[18:19], v[74:75], s[14:15], v[66:67]
	s_delay_alu instid0(VALU_DEP_4) | instskip(NEXT) | instid1(VALU_DEP_2)
	v_fma_f64 v[16:17], v[72:73], s[8:9], v[16:17]
	v_fma_f64 v[18:19], v[76:77], s[2:3], v[18:19]
	s_delay_alu instid0(VALU_DEP_2) | instskip(NEXT) | instid1(VALU_DEP_2)
	v_fma_f64 v[16:17], v[64:65], s[12:13], v[16:17]
	v_fma_f64 v[18:19], v[62:63], s[12:13], v[18:19]
	s_delay_alu instid0(VALU_DEP_2) | instskip(SKIP_1) | instid1(VALU_DEP_2)
	v_mul_f64 v[24:25], v[16:17], s[8:9]
	v_mul_f64 v[16:17], v[16:17], s[20:21]
	v_fma_f64 v[24:25], v[18:19], s[20:21], v[24:25]
	s_delay_alu instid0(VALU_DEP_2) | instskip(SKIP_2) | instid1(SALU_CYCLE_1)
	v_fma_f64 v[26:27], v[18:19], s[2:3], v[16:17]
	s_mul_i32 s2, s5, 0x1900
	s_mul_hi_u32 s3, s4, 0x1900
	s_add_i32 s3, s3, s2
	s_mul_i32 s2, s5, 0xffff2b80
	s_delay_alu instid0(SALU_CYCLE_1) | instskip(NEXT) | instid1(VALU_DEP_2)
	s_sub_i32 s2, s2, s4
	v_add_f64 v[16:17], v[20:21], v[24:25]
	s_delay_alu instid0(VALU_DEP_2)
	v_add_f64 v[18:19], v[22:23], v[26:27]
	v_add_f64 v[20:21], v[20:21], -v[24:25]
	v_add_f64 v[22:23], v[22:23], -v[26:27]
	ds_store_b128 v84, v[34:37]
	ds_store_b128 v84, v[42:45] offset:1600
	ds_store_b128 v84, v[0:3] offset:3200
	;; [unrolled: 1-line block ×9, first 2 shown]
	s_waitcnt lgkmcnt(0)
	s_barrier
	buffer_gl0_inv
	scratch_load_b128 v[10:13], off, off offset:504 ; 16-byte Folded Reload
	ds_load_b128 v[0:3], v143 offset:16000
	s_waitcnt lgkmcnt(0)
	v_mul_f64 v[4:5], v[206:207], v[2:3]
	s_delay_alu instid0(VALU_DEP_1)
	v_fma_f64 v[16:17], v[204:205], v[0:1], v[4:5]
	v_mul_f64 v[0:1], v[206:207], v[0:1]
	ds_load_b128 v[4:7], v143 offset:32000
	v_fma_f64 v[2:3], v[204:205], v[2:3], -v[0:1]
	s_waitcnt lgkmcnt(0)
	v_mul_f64 v[0:1], v[214:215], v[6:7]
	s_delay_alu instid0(VALU_DEP_1) | instskip(SKIP_1) | instid1(VALU_DEP_1)
	v_fma_f64 v[0:1], v[212:213], v[4:5], v[0:1]
	v_mul_f64 v[4:5], v[214:215], v[4:5]
	v_fma_f64 v[22:23], v[212:213], v[6:7], -v[4:5]
	ds_load_b128 v[4:7], v143 offset:48000
	s_waitcnt vmcnt(0) lgkmcnt(0)
	v_mul_f64 v[8:9], v[12:13], v[6:7]
	s_delay_alu instid0(VALU_DEP_1) | instskip(SKIP_1) | instid1(VALU_DEP_2)
	v_fma_f64 v[24:25], v[10:11], v[4:5], v[8:9]
	v_mul_f64 v[4:5], v[12:13], v[4:5]
	v_add_f64 v[72:73], v[16:17], -v[24:25]
	s_delay_alu instid0(VALU_DEP_2) | instskip(SKIP_4) | instid1(VALU_DEP_2)
	v_fma_f64 v[26:27], v[10:11], v[6:7], -v[4:5]
	ds_load_b128 v[6:9], v143 offset:19200
	s_waitcnt lgkmcnt(0)
	v_mul_f64 v[4:5], v[90:91], v[8:9]
	v_add_f64 v[70:71], v[2:3], -v[26:27]
	v_fma_f64 v[4:5], v[88:89], v[6:7], v[4:5]
	v_mul_f64 v[6:7], v[90:91], v[6:7]
	s_delay_alu instid0(VALU_DEP_3) | instskip(NEXT) | instid1(VALU_DEP_2)
	v_fma_f64 v[2:3], v[2:3], 2.0, -v[70:71]
	v_fma_f64 v[6:7], v[88:89], v[8:9], -v[6:7]
	ds_load_b128 v[8:11], v143 offset:35200
	s_waitcnt lgkmcnt(0)
	v_mul_f64 v[12:13], v[126:127], v[10:11]
	s_delay_alu instid0(VALU_DEP_1) | instskip(SKIP_1) | instid1(VALU_DEP_1)
	v_fma_f64 v[28:29], v[124:125], v[8:9], v[12:13]
	v_mul_f64 v[8:9], v[126:127], v[8:9]
	v_fma_f64 v[30:31], v[124:125], v[10:11], -v[8:9]
	ds_load_b128 v[8:11], v143 offset:51200
	s_waitcnt lgkmcnt(0)
	v_mul_f64 v[12:13], v[130:131], v[10:11]
	s_delay_alu instid0(VALU_DEP_1) | instskip(SKIP_1) | instid1(VALU_DEP_2)
	v_fma_f64 v[32:33], v[128:129], v[8:9], v[12:13]
	v_mul_f64 v[8:9], v[130:131], v[8:9]
	v_add_f64 v[78:79], v[4:5], -v[32:33]
	s_delay_alu instid0(VALU_DEP_2) | instskip(SKIP_4) | instid1(VALU_DEP_2)
	v_fma_f64 v[34:35], v[128:129], v[10:11], -v[8:9]
	ds_load_b128 v[8:11], v143 offset:22400
	s_waitcnt lgkmcnt(0)
	v_mul_f64 v[12:13], v[170:171], v[10:11]
	v_add_f64 v[76:77], v[6:7], -v[34:35]
	v_fma_f64 v[12:13], v[168:169], v[8:9], v[12:13]
	v_mul_f64 v[8:9], v[170:171], v[8:9]
	s_delay_alu instid0(VALU_DEP_3) | instskip(NEXT) | instid1(VALU_DEP_2)
	v_fma_f64 v[6:7], v[6:7], 2.0, -v[76:77]
	v_fma_f64 v[14:15], v[168:169], v[10:11], -v[8:9]
	ds_load_b128 v[8:11], v143 offset:38400
	s_waitcnt lgkmcnt(0)
	v_mul_f64 v[18:19], v[174:175], v[10:11]
	s_delay_alu instid0(VALU_DEP_1) | instskip(SKIP_1) | instid1(VALU_DEP_1)
	v_fma_f64 v[36:37], v[172:173], v[8:9], v[18:19]
	v_mul_f64 v[8:9], v[174:175], v[8:9]
	v_fma_f64 v[38:39], v[172:173], v[10:11], -v[8:9]
	ds_load_b128 v[8:11], v143 offset:54400
	s_waitcnt lgkmcnt(0)
	v_mul_f64 v[18:19], v[178:179], v[10:11]
	s_delay_alu instid0(VALU_DEP_1)
	v_fma_f64 v[40:41], v[176:177], v[8:9], v[18:19]
	v_mul_f64 v[8:9], v[178:179], v[8:9]
	ds_load_b128 v[18:21], v143 offset:25600
	v_add_f64 v[84:85], v[12:13], -v[40:41]
	v_fma_f64 v[42:43], v[176:177], v[10:11], -v[8:9]
	s_waitcnt lgkmcnt(0)
	v_mul_f64 v[8:9], v[182:183], v[20:21]
	v_mul_f64 v[10:11], v[182:183], v[18:19]
	s_delay_alu instid0(VALU_DEP_3) | instskip(NEXT) | instid1(VALU_DEP_3)
	v_add_f64 v[42:43], v[14:15], -v[42:43]
	v_fma_f64 v[8:9], v[180:181], v[18:19], v[8:9]
	s_delay_alu instid0(VALU_DEP_3) | instskip(SKIP_3) | instid1(VALU_DEP_1)
	v_fma_f64 v[10:11], v[180:181], v[20:21], -v[10:11]
	ds_load_b128 v[18:21], v143 offset:41600
	s_waitcnt lgkmcnt(0)
	v_mul_f64 v[44:45], v[186:187], v[20:21]
	v_fma_f64 v[44:45], v[184:185], v[18:19], v[44:45]
	v_mul_f64 v[18:19], v[186:187], v[18:19]
	s_delay_alu instid0(VALU_DEP_1) | instskip(SKIP_3) | instid1(VALU_DEP_1)
	v_fma_f64 v[46:47], v[184:185], v[20:21], -v[18:19]
	ds_load_b128 v[18:21], v143 offset:57600
	s_waitcnt lgkmcnt(0)
	v_mul_f64 v[48:49], v[190:191], v[20:21]
	v_fma_f64 v[48:49], v[188:189], v[18:19], v[48:49]
	v_mul_f64 v[18:19], v[190:191], v[18:19]
	s_delay_alu instid0(VALU_DEP_2) | instskip(NEXT) | instid1(VALU_DEP_2)
	v_add_f64 v[48:49], v[8:9], -v[48:49]
	v_fma_f64 v[50:51], v[188:189], v[20:21], -v[18:19]
	ds_load_b128 v[18:21], v143 offset:28800
	s_waitcnt lgkmcnt(0)
	v_mul_f64 v[52:53], v[194:195], v[20:21]
	v_add_f64 v[50:51], v[10:11], -v[50:51]
	s_delay_alu instid0(VALU_DEP_2) | instskip(SKIP_1) | instid1(VALU_DEP_1)
	v_fma_f64 v[52:53], v[192:193], v[18:19], v[52:53]
	v_mul_f64 v[18:19], v[194:195], v[18:19]
	v_fma_f64 v[54:55], v[192:193], v[20:21], -v[18:19]
	ds_load_b128 v[18:21], v143 offset:44800
	s_waitcnt lgkmcnt(0)
	v_mul_f64 v[56:57], v[198:199], v[20:21]
	s_delay_alu instid0(VALU_DEP_1) | instskip(SKIP_1) | instid1(VALU_DEP_1)
	v_fma_f64 v[56:57], v[196:197], v[18:19], v[56:57]
	v_mul_f64 v[18:19], v[198:199], v[18:19]
	v_fma_f64 v[58:59], v[196:197], v[20:21], -v[18:19]
	ds_load_b128 v[18:21], v143 offset:60800
	s_waitcnt lgkmcnt(0)
	v_mul_f64 v[60:61], v[202:203], v[20:21]
	s_delay_alu instid0(VALU_DEP_1) | instskip(SKIP_1) | instid1(VALU_DEP_2)
	v_fma_f64 v[60:61], v[200:201], v[18:19], v[60:61]
	v_mul_f64 v[18:19], v[202:203], v[18:19]
	v_add_f64 v[60:61], v[52:53], -v[60:61]
	s_delay_alu instid0(VALU_DEP_2)
	v_fma_f64 v[62:63], v[200:201], v[20:21], -v[18:19]
	ds_load_b128 v[18:21], v143
	s_waitcnt lgkmcnt(0)
	v_add_f64 v[0:1], v[18:19], -v[0:1]
	v_add_f64 v[64:65], v[20:21], -v[22:23]
	;; [unrolled: 1-line block ×3, first 2 shown]
	s_delay_alu instid0(VALU_DEP_3) | instskip(NEXT) | instid1(VALU_DEP_3)
	v_fma_f64 v[66:67], v[18:19], 2.0, -v[0:1]
	v_fma_f64 v[68:69], v[20:21], 2.0, -v[64:65]
	v_add_f64 v[18:19], v[0:1], v[70:71]
	v_add_f64 v[20:21], v[64:65], -v[72:73]
	s_delay_alu instid0(VALU_DEP_3) | instskip(NEXT) | instid1(VALU_DEP_3)
	v_add_f64 v[2:3], v[68:69], -v[2:3]
	v_fma_f64 v[22:23], v[0:1], 2.0, -v[18:19]
	s_delay_alu instid0(VALU_DEP_3)
	v_fma_f64 v[24:25], v[64:65], 2.0, -v[20:21]
	ds_store_b128 v143, v[18:21] offset:48000
	ds_load_b128 v[18:21], v143 offset:3200
	s_waitcnt lgkmcnt(0)
	v_add_f64 v[0:1], v[18:19], -v[28:29]
	v_add_f64 v[28:29], v[20:21], -v[30:31]
	s_delay_alu instid0(VALU_DEP_2) | instskip(NEXT) | instid1(VALU_DEP_2)
	v_fma_f64 v[64:65], v[18:19], 2.0, -v[0:1]
	v_fma_f64 v[74:75], v[20:21], 2.0, -v[28:29]
	v_add_f64 v[18:19], v[0:1], v[76:77]
	v_add_f64 v[20:21], v[28:29], -v[78:79]
	s_delay_alu instid0(VALU_DEP_3) | instskip(NEXT) | instid1(VALU_DEP_3)
	v_add_f64 v[6:7], v[74:75], -v[6:7]
	v_fma_f64 v[26:27], v[0:1], 2.0, -v[18:19]
	s_delay_alu instid0(VALU_DEP_3)
	v_fma_f64 v[28:29], v[28:29], 2.0, -v[20:21]
	ds_store_b128 v143, v[18:21] offset:51200
	ds_load_b128 v[18:21], v143 offset:6400
	s_waitcnt lgkmcnt(0)
	v_add_f64 v[0:1], v[18:19], -v[36:37]
	v_add_f64 v[32:33], v[20:21], -v[38:39]
	s_delay_alu instid0(VALU_DEP_2) | instskip(NEXT) | instid1(VALU_DEP_2)
	v_fma_f64 v[80:81], v[18:19], 2.0, -v[0:1]
	v_fma_f64 v[82:83], v[20:21], 2.0, -v[32:33]
	v_add_f64 v[18:19], v[0:1], v[42:43]
	v_add_f64 v[20:21], v[32:33], -v[84:85]
	s_delay_alu instid0(VALU_DEP_2) | instskip(NEXT) | instid1(VALU_DEP_2)
	v_fma_f64 v[30:31], v[0:1], 2.0, -v[18:19]
	v_fma_f64 v[32:33], v[32:33], 2.0, -v[20:21]
	ds_store_b128 v143, v[18:21] offset:54400
	ds_load_b128 v[18:21], v143 offset:9600
	s_waitcnt lgkmcnt(0)
	v_add_f64 v[0:1], v[18:19], -v[44:45]
	v_add_f64 v[36:37], v[20:21], -v[46:47]
	s_delay_alu instid0(VALU_DEP_2) | instskip(NEXT) | instid1(VALU_DEP_2)
	v_fma_f64 v[44:45], v[18:19], 2.0, -v[0:1]
	v_fma_f64 v[46:47], v[20:21], 2.0, -v[36:37]
	v_add_f64 v[18:19], v[0:1], v[50:51]
	v_add_f64 v[20:21], v[36:37], -v[48:49]
	s_delay_alu instid0(VALU_DEP_2) | instskip(NEXT) | instid1(VALU_DEP_2)
	v_fma_f64 v[34:35], v[0:1], 2.0, -v[18:19]
	v_fma_f64 v[36:37], v[36:37], 2.0, -v[20:21]
	ds_store_b128 v143, v[18:21] offset:57600
	ds_load_b128 v[18:21], v143 offset:12800
	s_waitcnt lgkmcnt(0)
	v_add_f64 v[0:1], v[18:19], -v[56:57]
	v_add_f64 v[40:41], v[20:21], -v[58:59]
	s_delay_alu instid0(VALU_DEP_2) | instskip(SKIP_1) | instid1(VALU_DEP_3)
	v_fma_f64 v[56:57], v[18:19], 2.0, -v[0:1]
	v_add_f64 v[18:19], v[0:1], v[62:63]
	v_fma_f64 v[58:59], v[20:21], 2.0, -v[40:41]
	v_add_f64 v[20:21], v[40:41], -v[60:61]
	ds_store_b128 v143, v[18:21] offset:60800
	ds_store_b128 v143, v[22:25] offset:16000
	;; [unrolled: 1-line block ×3, first 2 shown]
	v_fma_f64 v[38:39], v[0:1], 2.0, -v[18:19]
	v_fma_f64 v[0:1], v[4:5], 2.0, -v[78:79]
	;; [unrolled: 1-line block ×4, first 2 shown]
	s_delay_alu instid0(VALU_DEP_3) | instskip(SKIP_1) | instid1(VALU_DEP_2)
	v_add_f64 v[4:5], v[64:65], -v[0:1]
	v_fma_f64 v[0:1], v[12:13], 2.0, -v[84:85]
	v_fma_f64 v[18:19], v[64:65], 2.0, -v[4:5]
	ds_store_b128 v143, v[4:7] offset:35200
	v_fma_f64 v[6:7], v[14:15], 2.0, -v[42:43]
	v_add_f64 v[4:5], v[80:81], -v[0:1]
	v_fma_f64 v[0:1], v[16:17], 2.0, -v[72:73]
	s_delay_alu instid0(VALU_DEP_3) | instskip(NEXT) | instid1(VALU_DEP_3)
	v_add_f64 v[6:7], v[82:83], -v[6:7]
	v_fma_f64 v[12:13], v[80:81], 2.0, -v[4:5]
	s_delay_alu instid0(VALU_DEP_3)
	v_add_f64 v[0:1], v[66:67], -v[0:1]
	ds_store_b128 v143, v[4:7] offset:38400
	ds_store_b128 v143, v[30:33] offset:22400
	;; [unrolled: 1-line block ×3, first 2 shown]
	v_fma_f64 v[14:15], v[82:83], 2.0, -v[6:7]
	v_fma_f64 v[4:5], v[66:67], 2.0, -v[0:1]
	v_fma_f64 v[6:7], v[68:69], 2.0, -v[2:3]
	ds_store_b128 v143, v[0:3] offset:32000
	ds_store_b128 v143, v[38:41] offset:28800
	v_fma_f64 v[0:1], v[8:9], 2.0, -v[48:49]
	v_fma_f64 v[2:3], v[10:11], 2.0, -v[50:51]
	s_delay_alu instid0(VALU_DEP_2) | instskip(NEXT) | instid1(VALU_DEP_2)
	v_add_f64 v[0:1], v[44:45], -v[0:1]
	v_add_f64 v[2:3], v[46:47], -v[2:3]
	s_delay_alu instid0(VALU_DEP_2) | instskip(NEXT) | instid1(VALU_DEP_2)
	v_fma_f64 v[8:9], v[44:45], 2.0, -v[0:1]
	v_fma_f64 v[10:11], v[46:47], 2.0, -v[2:3]
	ds_store_b128 v143, v[0:3] offset:41600
	v_fma_f64 v[0:1], v[52:53], 2.0, -v[60:61]
	v_fma_f64 v[2:3], v[54:55], 2.0, -v[62:63]
	s_delay_alu instid0(VALU_DEP_2) | instskip(NEXT) | instid1(VALU_DEP_2)
	v_add_f64 v[0:1], v[56:57], -v[0:1]
	v_add_f64 v[2:3], v[58:59], -v[2:3]
	s_delay_alu instid0(VALU_DEP_2) | instskip(NEXT) | instid1(VALU_DEP_2)
	v_fma_f64 v[22:23], v[56:57], 2.0, -v[0:1]
	v_fma_f64 v[24:25], v[58:59], 2.0, -v[2:3]
	ds_store_b128 v143, v[0:3] offset:44800
	ds_store_b128 v143, v[18:21] offset:3200
	;; [unrolled: 1-line block ×5, first 2 shown]
	ds_store_b128 v143, v[4:7]
	s_waitcnt lgkmcnt(0)
	s_barrier
	buffer_gl0_inv
	s_clause 0x7
	scratch_load_b128 v[6:9], off, off offset:104
	scratch_load_b128 v[34:37], off, off offset:120
	;; [unrolled: 1-line block ×8, first 2 shown]
	ds_load_b128 v[0:3], v143
	s_clause 0xb
	scratch_load_b128 v[38:41], off, off offset:136
	scratch_load_b128 v[42:45], off, off offset:152
	;; [unrolled: 1-line block ×12, first 2 shown]
	s_waitcnt vmcnt(19) lgkmcnt(0)
	v_mul_f64 v[4:5], v[8:9], v[2:3]
	s_delay_alu instid0(VALU_DEP_1) | instskip(SKIP_1) | instid1(VALU_DEP_1)
	v_fma_f64 v[4:5], v[6:7], v[0:1], v[4:5]
	v_mul_f64 v[0:1], v[8:9], v[0:1]
	v_fma_f64 v[6:7], v[6:7], v[2:3], -v[0:1]
	ds_load_b128 v[0:3], v143 offset:6400
	s_waitcnt vmcnt(17) lgkmcnt(0)
	v_mul_f64 v[8:9], v[12:13], v[2:3]
	s_delay_alu instid0(VALU_DEP_1) | instskip(SKIP_1) | instid1(VALU_DEP_1)
	v_fma_f64 v[8:9], v[10:11], v[0:1], v[8:9]
	v_mul_f64 v[0:1], v[12:13], v[0:1]
	v_fma_f64 v[10:11], v[10:11], v[2:3], -v[0:1]
	ds_load_b128 v[0:3], v143 offset:12800
	;; [unrolled: 7-line block ×5, first 2 shown]
	s_waitcnt lgkmcnt(0)
	v_mul_f64 v[24:25], v[28:29], v[2:3]
	s_delay_alu instid0(VALU_DEP_1) | instskip(SKIP_1) | instid1(VALU_DEP_1)
	v_fma_f64 v[24:25], v[26:27], v[0:1], v[24:25]
	v_mul_f64 v[0:1], v[28:29], v[0:1]
	v_fma_f64 v[26:27], v[26:27], v[2:3], -v[0:1]
	ds_load_b128 v[0:3], v143 offset:38400
	s_waitcnt lgkmcnt(0)
	v_mul_f64 v[28:29], v[32:33], v[2:3]
	s_delay_alu instid0(VALU_DEP_1) | instskip(SKIP_1) | instid1(VALU_DEP_1)
	v_fma_f64 v[28:29], v[30:31], v[0:1], v[28:29]
	v_mul_f64 v[0:1], v[32:33], v[0:1]
	v_fma_f64 v[30:31], v[30:31], v[2:3], -v[0:1]
	ds_load_b128 v[0:3], v143 offset:44800
	s_waitcnt lgkmcnt(0)
	v_mul_f64 v[32:33], v[36:37], v[2:3]
	s_delay_alu instid0(VALU_DEP_1) | instskip(SKIP_1) | instid1(VALU_DEP_1)
	v_fma_f64 v[32:33], v[34:35], v[0:1], v[32:33]
	v_mul_f64 v[0:1], v[36:37], v[0:1]
	v_fma_f64 v[34:35], v[34:35], v[2:3], -v[0:1]
	ds_load_b128 v[0:3], v143 offset:51200
	s_waitcnt vmcnt(11) lgkmcnt(0)
	v_mul_f64 v[36:37], v[40:41], v[2:3]
	s_delay_alu instid0(VALU_DEP_1) | instskip(SKIP_1) | instid1(VALU_DEP_1)
	v_fma_f64 v[36:37], v[38:39], v[0:1], v[36:37]
	v_mul_f64 v[0:1], v[40:41], v[0:1]
	v_fma_f64 v[38:39], v[38:39], v[2:3], -v[0:1]
	ds_load_b128 v[0:3], v143 offset:57600
	s_waitcnt vmcnt(10) lgkmcnt(0)
	v_mul_f64 v[40:41], v[44:45], v[2:3]
	s_delay_alu instid0(VALU_DEP_1) | instskip(SKIP_1) | instid1(VALU_DEP_1)
	v_fma_f64 v[40:41], v[42:43], v[0:1], v[40:41]
	v_mul_f64 v[0:1], v[44:45], v[0:1]
	v_fma_f64 v[42:43], v[42:43], v[2:3], -v[0:1]
	ds_load_b128 v[0:3], v143 offset:3200
	;; [unrolled: 7-line block ×11, first 2 shown]
	s_waitcnt vmcnt(0) lgkmcnt(0)
	v_mul_f64 v[80:81], v[84:85], v[2:3]
	s_delay_alu instid0(VALU_DEP_1)
	v_fma_f64 v[80:81], v[82:83], v[0:1], v[80:81]
	v_mul_f64 v[0:1], v[84:85], v[0:1]
	scratch_load_b64 v[84:85], off, off     ; 8-byte Folded Reload
	v_fma_f64 v[82:83], v[82:83], v[2:3], -v[0:1]
	s_waitcnt vmcnt(0)
	v_mad_u64_u32 v[0:1], null, s6, v84, 0
	s_mul_i32 s6, s4, 0x1900
	s_delay_alu instid0(VALU_DEP_1) | instskip(NEXT) | instid1(VALU_DEP_1)
	v_mad_u64_u32 v[2:3], null, s7, v84, v[1:2]
	v_mov_b32_e32 v1, v2
	v_mad_u64_u32 v[2:3], null, s4, v86, 0
	s_delay_alu instid0(VALU_DEP_2) | instskip(NEXT) | instid1(VALU_DEP_2)
	v_lshlrev_b64 v[0:1], 4, v[0:1]
	v_mad_u64_u32 v[84:85], null, s5, v86, v[3:4]
	s_delay_alu instid0(VALU_DEP_1) | instskip(NEXT) | instid1(VALU_DEP_3)
	v_mov_b32_e32 v3, v84
	v_add_co_u32 v84, vcc_lo, s0, v0
	s_delay_alu instid0(VALU_DEP_4) | instskip(NEXT) | instid1(VALU_DEP_3)
	v_add_co_ci_u32_e32 v85, vcc_lo, s1, v1, vcc_lo
	v_lshlrev_b64 v[0:1], 4, v[2:3]
	s_mov_b32 s0, 0xd2f1a9fc
	s_mov_b32 s1, 0x3f30624d
	s_delay_alu instid0(SALU_CYCLE_1) | instskip(NEXT) | instid1(VALU_DEP_2)
	v_mul_f64 v[2:3], v[6:7], s[0:1]
	v_add_co_u32 v84, vcc_lo, v84, v0
	s_delay_alu instid0(VALU_DEP_3) | instskip(SKIP_1) | instid1(VALU_DEP_3)
	v_add_co_ci_u32_e32 v85, vcc_lo, v85, v1, vcc_lo
	v_mul_f64 v[0:1], v[4:5], s[0:1]
	v_add_co_u32 v4, vcc_lo, v84, s6
	s_delay_alu instid0(VALU_DEP_3)
	v_add_co_ci_u32_e32 v5, vcc_lo, s3, v85, vcc_lo
	global_store_b128 v[84:85], v[0:3], off
	v_mul_f64 v[0:1], v[8:9], s[0:1]
	v_mul_f64 v[2:3], v[10:11], s[0:1]
	;; [unrolled: 1-line block ×3, first 2 shown]
	global_store_b128 v[4:5], v[0:3], off
	v_mul_f64 v[0:1], v[12:13], s[0:1]
	v_mul_f64 v[2:3], v[14:15], s[0:1]
	v_add_co_u32 v4, vcc_lo, v4, s6
	v_add_co_ci_u32_e32 v5, vcc_lo, s3, v5, vcc_lo
	v_mul_f64 v[12:13], v[64:65], s[0:1]
	v_mul_f64 v[14:15], v[66:67], s[0:1]
	global_store_b128 v[4:5], v[0:3], off
	v_mul_f64 v[0:1], v[16:17], s[0:1]
	v_mul_f64 v[2:3], v[18:19], s[0:1]
	v_add_co_u32 v4, vcc_lo, v4, s6
	v_add_co_ci_u32_e32 v5, vcc_lo, s3, v5, vcc_lo
	v_mul_f64 v[16:17], v[68:69], s[0:1]
	v_mul_f64 v[18:19], v[70:71], s[0:1]
	;; [unrolled: 7-line block ×5, first 2 shown]
	global_store_b128 v[4:5], v[0:3], off
	v_mul_f64 v[0:1], v[32:33], s[0:1]
	v_mul_f64 v[2:3], v[34:35], s[0:1]
	v_add_co_u32 v4, vcc_lo, v4, s6
	v_add_co_ci_u32_e32 v5, vcc_lo, s3, v5, vcc_lo
	global_store_b128 v[4:5], v[0:3], off
	v_mul_f64 v[0:1], v[36:37], s[0:1]
	v_mul_f64 v[2:3], v[38:39], s[0:1]
	v_add_co_u32 v4, vcc_lo, v4, s6
	v_add_co_ci_u32_e32 v5, vcc_lo, s3, v5, vcc_lo
	;; [unrolled: 5-line block ×3, first 2 shown]
	s_delay_alu instid0(VALU_DEP_1) | instskip(NEXT) | instid1(VALU_DEP_1)
	v_mad_u64_u32 v[6:7], null, 0xffff2b80, s4, v[4:5]
	v_add_nc_u32_e32 v7, s2, v7
	s_delay_alu instid0(VALU_DEP_2) | instskip(NEXT) | instid1(VALU_DEP_2)
	v_add_co_u32 v8, vcc_lo, v6, s6
	v_add_co_ci_u32_e32 v9, vcc_lo, s3, v7, vcc_lo
	s_delay_alu instid0(VALU_DEP_2) | instskip(NEXT) | instid1(VALU_DEP_2)
	v_add_co_u32 v32, vcc_lo, v8, s6
	v_add_co_ci_u32_e32 v33, vcc_lo, s3, v9, vcc_lo
	;; [unrolled: 3-line block ×3, first 2 shown]
	global_store_b128 v[4:5], v[0:3], off
	v_mul_f64 v[0:1], v[44:45], s[0:1]
	v_mul_f64 v[2:3], v[46:47], s[0:1]
	v_mul_f64 v[4:5], v[56:57], s[0:1]
	global_store_b128 v[6:7], v[0:3], off
	v_mul_f64 v[0:1], v[48:49], s[0:1]
	v_mul_f64 v[2:3], v[50:51], s[0:1]
	v_mul_f64 v[6:7], v[58:59], s[0:1]
	;; [unrolled: 4-line block ×3, first 2 shown]
	global_store_b128 v[32:33], v[0:3], off
	v_add_co_u32 v0, vcc_lo, v34, s6
	v_add_co_ci_u32_e32 v1, vcc_lo, s3, v35, vcc_lo
	global_store_b128 v[34:35], v[4:7], off
	v_add_co_u32 v2, vcc_lo, v0, s6
	v_add_co_ci_u32_e32 v3, vcc_lo, s3, v1, vcc_lo
	s_delay_alu instid0(VALU_DEP_2) | instskip(NEXT) | instid1(VALU_DEP_2)
	v_add_co_u32 v32, vcc_lo, v2, s6
	v_add_co_ci_u32_e32 v33, vcc_lo, s3, v3, vcc_lo
	s_delay_alu instid0(VALU_DEP_2) | instskip(NEXT) | instid1(VALU_DEP_2)
	;; [unrolled: 3-line block ×4, first 2 shown]
	v_add_co_u32 v34, vcc_lo, v6, s6
	v_add_co_ci_u32_e32 v35, vcc_lo, s3, v7, vcc_lo
	global_store_b128 v[0:1], v[8:11], off
	global_store_b128 v[2:3], v[12:15], off
	;; [unrolled: 1-line block ×6, first 2 shown]
.LBB0_2:
	s_nop 0
	s_sendmsg sendmsg(MSG_DEALLOC_VGPRS)
	s_endpgm
	.section	.rodata,"a",@progbits
	.p2align	6, 0x0
	.amdhsa_kernel bluestein_single_back_len4000_dim1_dp_op_CI_CI
		.amdhsa_group_segment_fixed_size 64000
		.amdhsa_private_segment_fixed_size 556
		.amdhsa_kernarg_size 104
		.amdhsa_user_sgpr_count 15
		.amdhsa_user_sgpr_dispatch_ptr 0
		.amdhsa_user_sgpr_queue_ptr 0
		.amdhsa_user_sgpr_kernarg_segment_ptr 1
		.amdhsa_user_sgpr_dispatch_id 0
		.amdhsa_user_sgpr_private_segment_size 0
		.amdhsa_wavefront_size32 1
		.amdhsa_uses_dynamic_stack 0
		.amdhsa_enable_private_segment 1
		.amdhsa_system_sgpr_workgroup_id_x 1
		.amdhsa_system_sgpr_workgroup_id_y 0
		.amdhsa_system_sgpr_workgroup_id_z 0
		.amdhsa_system_sgpr_workgroup_info 0
		.amdhsa_system_vgpr_workitem_id 0
		.amdhsa_next_free_vgpr 256
		.amdhsa_next_free_sgpr 25
		.amdhsa_reserve_vcc 1
		.amdhsa_float_round_mode_32 0
		.amdhsa_float_round_mode_16_64 0
		.amdhsa_float_denorm_mode_32 3
		.amdhsa_float_denorm_mode_16_64 3
		.amdhsa_dx10_clamp 1
		.amdhsa_ieee_mode 1
		.amdhsa_fp16_overflow 0
		.amdhsa_workgroup_processor_mode 1
		.amdhsa_memory_ordered 1
		.amdhsa_forward_progress 0
		.amdhsa_shared_vgpr_count 0
		.amdhsa_exception_fp_ieee_invalid_op 0
		.amdhsa_exception_fp_denorm_src 0
		.amdhsa_exception_fp_ieee_div_zero 0
		.amdhsa_exception_fp_ieee_overflow 0
		.amdhsa_exception_fp_ieee_underflow 0
		.amdhsa_exception_fp_ieee_inexact 0
		.amdhsa_exception_int_div_zero 0
	.end_amdhsa_kernel
	.text
.Lfunc_end0:
	.size	bluestein_single_back_len4000_dim1_dp_op_CI_CI, .Lfunc_end0-bluestein_single_back_len4000_dim1_dp_op_CI_CI
                                        ; -- End function
	.section	.AMDGPU.csdata,"",@progbits
; Kernel info:
; codeLenInByte = 31392
; NumSgprs: 27
; NumVgprs: 256
; ScratchSize: 556
; MemoryBound: 0
; FloatMode: 240
; IeeeMode: 1
; LDSByteSize: 64000 bytes/workgroup (compile time only)
; SGPRBlocks: 3
; VGPRBlocks: 31
; NumSGPRsForWavesPerEU: 27
; NumVGPRsForWavesPerEU: 256
; Occupancy: 4
; WaveLimiterHint : 1
; COMPUTE_PGM_RSRC2:SCRATCH_EN: 1
; COMPUTE_PGM_RSRC2:USER_SGPR: 15
; COMPUTE_PGM_RSRC2:TRAP_HANDLER: 0
; COMPUTE_PGM_RSRC2:TGID_X_EN: 1
; COMPUTE_PGM_RSRC2:TGID_Y_EN: 0
; COMPUTE_PGM_RSRC2:TGID_Z_EN: 0
; COMPUTE_PGM_RSRC2:TIDIG_COMP_CNT: 0
	.text
	.p2alignl 7, 3214868480
	.fill 96, 4, 3214868480
	.type	__hip_cuid_48a77cf4d840ae3,@object ; @__hip_cuid_48a77cf4d840ae3
	.section	.bss,"aw",@nobits
	.globl	__hip_cuid_48a77cf4d840ae3
__hip_cuid_48a77cf4d840ae3:
	.byte	0                               ; 0x0
	.size	__hip_cuid_48a77cf4d840ae3, 1

	.ident	"AMD clang version 19.0.0git (https://github.com/RadeonOpenCompute/llvm-project roc-6.4.0 25133 c7fe45cf4b819c5991fe208aaa96edf142730f1d)"
	.section	".note.GNU-stack","",@progbits
	.addrsig
	.addrsig_sym __hip_cuid_48a77cf4d840ae3
	.amdgpu_metadata
---
amdhsa.kernels:
  - .args:
      - .actual_access:  read_only
        .address_space:  global
        .offset:         0
        .size:           8
        .value_kind:     global_buffer
      - .actual_access:  read_only
        .address_space:  global
        .offset:         8
        .size:           8
        .value_kind:     global_buffer
      - .actual_access:  read_only
        .address_space:  global
        .offset:         16
        .size:           8
        .value_kind:     global_buffer
      - .actual_access:  read_only
        .address_space:  global
        .offset:         24
        .size:           8
        .value_kind:     global_buffer
      - .actual_access:  read_only
        .address_space:  global
        .offset:         32
        .size:           8
        .value_kind:     global_buffer
      - .offset:         40
        .size:           8
        .value_kind:     by_value
      - .address_space:  global
        .offset:         48
        .size:           8
        .value_kind:     global_buffer
      - .address_space:  global
        .offset:         56
        .size:           8
        .value_kind:     global_buffer
      - .address_space:  global
        .offset:         64
        .size:           8
        .value_kind:     global_buffer
      - .address_space:  global
        .offset:         72
        .size:           8
        .value_kind:     global_buffer
      - .offset:         80
        .size:           4
        .value_kind:     by_value
      - .address_space:  global
        .offset:         88
        .size:           8
        .value_kind:     global_buffer
      - .address_space:  global
        .offset:         96
        .size:           8
        .value_kind:     global_buffer
    .group_segment_fixed_size: 64000
    .kernarg_segment_align: 8
    .kernarg_segment_size: 104
    .language:       OpenCL C
    .language_version:
      - 2
      - 0
    .max_flat_workgroup_size: 200
    .name:           bluestein_single_back_len4000_dim1_dp_op_CI_CI
    .private_segment_fixed_size: 556
    .sgpr_count:     27
    .sgpr_spill_count: 0
    .symbol:         bluestein_single_back_len4000_dim1_dp_op_CI_CI.kd
    .uniform_work_group_size: 1
    .uses_dynamic_stack: false
    .vgpr_count:     256
    .vgpr_spill_count: 138
    .wavefront_size: 32
    .workgroup_processor_mode: 1
amdhsa.target:   amdgcn-amd-amdhsa--gfx1100
amdhsa.version:
  - 1
  - 2
...

	.end_amdgpu_metadata
